;; amdgpu-corpus repo=ROCm/rocFFT kind=compiled arch=gfx906 opt=O3
	.text
	.amdgcn_target "amdgcn-amd-amdhsa--gfx906"
	.amdhsa_code_object_version 6
	.protected	fft_rtc_fwd_len2700_factors_3_10_10_3_3_wgs_90_tpt_90_halfLds_half_op_CI_CI_unitstride_sbrr_C2R_dirReg ; -- Begin function fft_rtc_fwd_len2700_factors_3_10_10_3_3_wgs_90_tpt_90_halfLds_half_op_CI_CI_unitstride_sbrr_C2R_dirReg
	.globl	fft_rtc_fwd_len2700_factors_3_10_10_3_3_wgs_90_tpt_90_halfLds_half_op_CI_CI_unitstride_sbrr_C2R_dirReg
	.p2align	8
	.type	fft_rtc_fwd_len2700_factors_3_10_10_3_3_wgs_90_tpt_90_halfLds_half_op_CI_CI_unitstride_sbrr_C2R_dirReg,@function
fft_rtc_fwd_len2700_factors_3_10_10_3_3_wgs_90_tpt_90_halfLds_half_op_CI_CI_unitstride_sbrr_C2R_dirReg: ; @fft_rtc_fwd_len2700_factors_3_10_10_3_3_wgs_90_tpt_90_halfLds_half_op_CI_CI_unitstride_sbrr_C2R_dirReg
; %bb.0:
	s_load_dwordx4 s[8:11], s[4:5], 0x58
	s_load_dwordx4 s[12:15], s[4:5], 0x0
	;; [unrolled: 1-line block ×3, first 2 shown]
	v_mul_u32_u24_e32 v1, 0x2d9, v0
	v_add_u32_sdwa v5, s6, v1 dst_sel:DWORD dst_unused:UNUSED_PAD src0_sel:DWORD src1_sel:WORD_1
	v_mov_b32_e32 v3, 0
	s_waitcnt lgkmcnt(0)
	v_cmp_lt_u64_e64 s[0:1], s[14:15], 2
	v_mov_b32_e32 v1, 0
	v_mov_b32_e32 v6, v3
	s_and_b64 vcc, exec, s[0:1]
	v_mov_b32_e32 v2, 0
	s_cbranch_vccnz .LBB0_8
; %bb.1:
	s_load_dwordx2 s[0:1], s[4:5], 0x10
	s_add_u32 s2, s18, 8
	s_addc_u32 s3, s19, 0
	s_add_u32 s6, s16, 8
	v_mov_b32_e32 v1, 0
	s_addc_u32 s7, s17, 0
	v_mov_b32_e32 v2, 0
	s_waitcnt lgkmcnt(0)
	s_add_u32 s20, s0, 8
	v_mov_b32_e32 v9, v2
	s_addc_u32 s21, s1, 0
	s_mov_b64 s[22:23], 1
	v_mov_b32_e32 v8, v1
.LBB0_2:                                ; =>This Inner Loop Header: Depth=1
	s_load_dwordx2 s[24:25], s[20:21], 0x0
                                        ; implicit-def: $vgpr12_vgpr13
	s_waitcnt lgkmcnt(0)
	v_or_b32_e32 v4, s25, v6
	v_cmp_ne_u64_e32 vcc, 0, v[3:4]
	s_and_saveexec_b64 s[0:1], vcc
	s_xor_b64 s[26:27], exec, s[0:1]
	s_cbranch_execz .LBB0_4
; %bb.3:                                ;   in Loop: Header=BB0_2 Depth=1
	v_cvt_f32_u32_e32 v4, s24
	v_cvt_f32_u32_e32 v7, s25
	s_sub_u32 s0, 0, s24
	s_subb_u32 s1, 0, s25
	v_mac_f32_e32 v4, 0x4f800000, v7
	v_rcp_f32_e32 v4, v4
	v_mul_f32_e32 v4, 0x5f7ffffc, v4
	v_mul_f32_e32 v7, 0x2f800000, v4
	v_trunc_f32_e32 v7, v7
	v_mac_f32_e32 v4, 0xcf800000, v7
	v_cvt_u32_f32_e32 v7, v7
	v_cvt_u32_f32_e32 v4, v4
	v_mul_lo_u32 v10, s0, v7
	v_mul_hi_u32 v11, s0, v4
	v_mul_lo_u32 v13, s1, v4
	v_mul_lo_u32 v12, s0, v4
	v_add_u32_e32 v10, v11, v10
	v_add_u32_e32 v10, v10, v13
	v_mul_hi_u32 v11, v4, v12
	v_mul_lo_u32 v13, v4, v10
	v_mul_hi_u32 v15, v4, v10
	v_mul_hi_u32 v14, v7, v12
	v_mul_lo_u32 v12, v7, v12
	v_mul_hi_u32 v16, v7, v10
	v_add_co_u32_e32 v11, vcc, v11, v13
	v_addc_co_u32_e32 v13, vcc, 0, v15, vcc
	v_mul_lo_u32 v10, v7, v10
	v_add_co_u32_e32 v11, vcc, v11, v12
	v_addc_co_u32_e32 v11, vcc, v13, v14, vcc
	v_addc_co_u32_e32 v12, vcc, 0, v16, vcc
	v_add_co_u32_e32 v10, vcc, v11, v10
	v_addc_co_u32_e32 v11, vcc, 0, v12, vcc
	v_add_co_u32_e32 v4, vcc, v4, v10
	v_addc_co_u32_e32 v7, vcc, v7, v11, vcc
	v_mul_lo_u32 v10, s0, v7
	v_mul_hi_u32 v11, s0, v4
	v_mul_lo_u32 v12, s1, v4
	v_mul_lo_u32 v13, s0, v4
	v_add_u32_e32 v10, v11, v10
	v_add_u32_e32 v10, v10, v12
	v_mul_lo_u32 v14, v4, v10
	v_mul_hi_u32 v15, v4, v13
	v_mul_hi_u32 v16, v4, v10
	v_mul_hi_u32 v12, v7, v13
	v_mul_lo_u32 v13, v7, v13
	v_mul_hi_u32 v11, v7, v10
	v_add_co_u32_e32 v14, vcc, v15, v14
	v_addc_co_u32_e32 v15, vcc, 0, v16, vcc
	v_mul_lo_u32 v10, v7, v10
	v_add_co_u32_e32 v13, vcc, v14, v13
	v_addc_co_u32_e32 v12, vcc, v15, v12, vcc
	v_addc_co_u32_e32 v11, vcc, 0, v11, vcc
	v_add_co_u32_e32 v10, vcc, v12, v10
	v_addc_co_u32_e32 v11, vcc, 0, v11, vcc
	v_add_co_u32_e32 v4, vcc, v4, v10
	v_addc_co_u32_e32 v7, vcc, v7, v11, vcc
	v_mad_u64_u32 v[10:11], s[0:1], v5, v7, 0
	v_mul_hi_u32 v12, v5, v4
	v_add_co_u32_e32 v14, vcc, v12, v10
	v_addc_co_u32_e32 v15, vcc, 0, v11, vcc
	v_mad_u64_u32 v[10:11], s[0:1], v6, v4, 0
	v_mad_u64_u32 v[12:13], s[0:1], v6, v7, 0
	v_add_co_u32_e32 v4, vcc, v14, v10
	v_addc_co_u32_e32 v4, vcc, v15, v11, vcc
	v_addc_co_u32_e32 v7, vcc, 0, v13, vcc
	v_add_co_u32_e32 v4, vcc, v4, v12
	v_addc_co_u32_e32 v7, vcc, 0, v7, vcc
	v_mul_lo_u32 v12, s25, v4
	v_mul_lo_u32 v13, s24, v7
	v_mad_u64_u32 v[10:11], s[0:1], s24, v4, 0
	v_add3_u32 v11, v11, v13, v12
	v_sub_u32_e32 v12, v6, v11
	v_mov_b32_e32 v13, s25
	v_sub_co_u32_e32 v10, vcc, v5, v10
	v_subb_co_u32_e64 v12, s[0:1], v12, v13, vcc
	v_subrev_co_u32_e64 v13, s[0:1], s24, v10
	v_subbrev_co_u32_e64 v12, s[0:1], 0, v12, s[0:1]
	v_cmp_le_u32_e64 s[0:1], s25, v12
	v_cndmask_b32_e64 v14, 0, -1, s[0:1]
	v_cmp_le_u32_e64 s[0:1], s24, v13
	v_cndmask_b32_e64 v13, 0, -1, s[0:1]
	v_cmp_eq_u32_e64 s[0:1], s25, v12
	v_cndmask_b32_e64 v12, v14, v13, s[0:1]
	v_add_co_u32_e64 v14, s[0:1], 2, v4
	v_addc_co_u32_e64 v13, s[0:1], 0, v7, s[0:1]
	v_add_co_u32_e64 v15, s[0:1], 1, v4
	v_addc_co_u32_e64 v16, s[0:1], 0, v7, s[0:1]
	v_subb_co_u32_e32 v11, vcc, v6, v11, vcc
	v_cmp_ne_u32_e64 s[0:1], 0, v12
	v_cmp_le_u32_e32 vcc, s25, v11
	v_cndmask_b32_e64 v12, v16, v13, s[0:1]
	v_cndmask_b32_e64 v13, 0, -1, vcc
	v_cmp_le_u32_e32 vcc, s24, v10
	v_cndmask_b32_e64 v10, 0, -1, vcc
	v_cmp_eq_u32_e32 vcc, s25, v11
	v_cndmask_b32_e32 v10, v13, v10, vcc
	v_cmp_ne_u32_e32 vcc, 0, v10
	v_cndmask_b32_e32 v13, v7, v12, vcc
	v_cndmask_b32_e64 v7, v15, v14, s[0:1]
	v_cndmask_b32_e32 v12, v4, v7, vcc
.LBB0_4:                                ;   in Loop: Header=BB0_2 Depth=1
	s_andn2_saveexec_b64 s[0:1], s[26:27]
	s_cbranch_execz .LBB0_6
; %bb.5:                                ;   in Loop: Header=BB0_2 Depth=1
	v_cvt_f32_u32_e32 v4, s24
	s_sub_i32 s26, 0, s24
	v_mov_b32_e32 v13, v3
	v_rcp_iflag_f32_e32 v4, v4
	v_mul_f32_e32 v4, 0x4f7ffffe, v4
	v_cvt_u32_f32_e32 v4, v4
	v_mul_lo_u32 v7, s26, v4
	v_mul_hi_u32 v7, v4, v7
	v_add_u32_e32 v4, v4, v7
	v_mul_hi_u32 v4, v5, v4
	v_mul_lo_u32 v7, v4, s24
	v_add_u32_e32 v10, 1, v4
	v_sub_u32_e32 v7, v5, v7
	v_subrev_u32_e32 v11, s24, v7
	v_cmp_le_u32_e32 vcc, s24, v7
	v_cndmask_b32_e32 v7, v7, v11, vcc
	v_cndmask_b32_e32 v4, v4, v10, vcc
	v_add_u32_e32 v10, 1, v4
	v_cmp_le_u32_e32 vcc, s24, v7
	v_cndmask_b32_e32 v12, v4, v10, vcc
.LBB0_6:                                ;   in Loop: Header=BB0_2 Depth=1
	s_or_b64 exec, exec, s[0:1]
	v_mul_lo_u32 v4, v13, s24
	v_mul_lo_u32 v7, v12, s25
	v_mad_u64_u32 v[10:11], s[0:1], v12, s24, 0
	s_load_dwordx2 s[0:1], s[6:7], 0x0
	s_load_dwordx2 s[24:25], s[2:3], 0x0
	v_add3_u32 v4, v11, v7, v4
	v_sub_co_u32_e32 v5, vcc, v5, v10
	v_subb_co_u32_e32 v4, vcc, v6, v4, vcc
	s_waitcnt lgkmcnt(0)
	v_mul_lo_u32 v6, s0, v4
	v_mul_lo_u32 v7, s1, v5
	v_mad_u64_u32 v[1:2], s[0:1], s0, v5, v[1:2]
	v_mul_lo_u32 v4, s24, v4
	v_mul_lo_u32 v10, s25, v5
	v_mad_u64_u32 v[8:9], s[0:1], s24, v5, v[8:9]
	s_add_u32 s22, s22, 1
	s_addc_u32 s23, s23, 0
	s_add_u32 s2, s2, 8
	v_add3_u32 v9, v10, v9, v4
	s_addc_u32 s3, s3, 0
	v_mov_b32_e32 v4, s14
	s_add_u32 s6, s6, 8
	v_mov_b32_e32 v5, s15
	s_addc_u32 s7, s7, 0
	v_cmp_ge_u64_e32 vcc, s[22:23], v[4:5]
	s_add_u32 s20, s20, 8
	v_add3_u32 v2, v7, v2, v6
	s_addc_u32 s21, s21, 0
	s_cbranch_vccnz .LBB0_9
; %bb.7:                                ;   in Loop: Header=BB0_2 Depth=1
	v_mov_b32_e32 v5, v12
	v_mov_b32_e32 v6, v13
	s_branch .LBB0_2
.LBB0_8:
	v_mov_b32_e32 v9, v2
	v_mov_b32_e32 v13, v6
	;; [unrolled: 1-line block ×4, first 2 shown]
.LBB0_9:
	s_load_dwordx2 s[4:5], s[4:5], 0x28
	s_lshl_b64 s[6:7], s[14:15], 3
	s_add_u32 s2, s18, s6
	s_addc_u32 s3, s19, s7
                                        ; implicit-def: $vgpr10
	s_waitcnt lgkmcnt(0)
	v_cmp_gt_u64_e64 s[0:1], s[4:5], v[12:13]
	v_cmp_le_u64_e32 vcc, s[4:5], v[12:13]
	s_and_saveexec_b64 s[4:5], vcc
	s_xor_b64 s[4:5], exec, s[4:5]
; %bb.10:
	s_mov_b32 s14, 0x2d82d83
	v_mul_hi_u32 v1, v0, s14
	v_mul_u32_u24_e32 v1, 0x5a, v1
	v_sub_u32_e32 v10, v0, v1
                                        ; implicit-def: $vgpr0
                                        ; implicit-def: $vgpr1_vgpr2
; %bb.11:
	s_or_saveexec_b64 s[4:5], s[4:5]
	s_load_dwordx2 s[2:3], s[2:3], 0x0
	s_xor_b64 exec, exec, s[4:5]
	s_cbranch_execz .LBB0_15
; %bb.12:
	s_add_u32 s6, s16, s6
	s_addc_u32 s7, s17, s7
	s_load_dwordx2 s[6:7], s[6:7], 0x0
	s_mov_b32 s14, 0x2d82d83
	v_mul_hi_u32 v5, v0, s14
	v_lshlrev_b64 v[1:2], 2, v[1:2]
	s_waitcnt lgkmcnt(0)
	v_mul_lo_u32 v6, s7, v12
	v_mul_lo_u32 v7, s6, v13
	v_mad_u64_u32 v[3:4], s[6:7], s6, v12, 0
	v_mul_u32_u24_e32 v5, 0x5a, v5
	v_sub_u32_e32 v10, v0, v5
	v_add3_u32 v4, v4, v7, v6
	v_lshlrev_b64 v[3:4], 2, v[3:4]
	v_mov_b32_e32 v0, s9
	v_add_co_u32_e32 v3, vcc, s8, v3
	v_addc_co_u32_e32 v0, vcc, v0, v4, vcc
	v_add_co_u32_e32 v1, vcc, v3, v1
	v_addc_co_u32_e32 v0, vcc, v0, v2, vcc
	v_lshlrev_b32_e32 v11, 2, v10
	v_add_co_u32_e32 v2, vcc, v1, v11
	v_addc_co_u32_e32 v3, vcc, 0, v0, vcc
	s_movk_i32 s6, 0x1000
	v_add_co_u32_e32 v4, vcc, s6, v2
	s_movk_i32 s7, 0x2000
	v_addc_co_u32_e32 v5, vcc, 0, v3, vcc
	v_add_co_u32_e32 v6, vcc, s7, v2
	global_load_dword v14, v[2:3], off offset:1080
	global_load_dword v15, v[2:3], off offset:1440
	;; [unrolled: 1-line block ×5, first 2 shown]
	global_load_dword v19, v[2:3], off
	global_load_dword v20, v[2:3], off offset:720
	global_load_dword v21, v[2:3], off offset:360
	v_addc_co_u32_e32 v7, vcc, 0, v3, vcc
	global_load_dword v22, v[2:3], off offset:2880
	global_load_dword v23, v[2:3], off offset:3240
	;; [unrolled: 1-line block ×15, first 2 shown]
                                        ; kill: killed $vgpr2 killed $vgpr3
                                        ; kill: killed $vgpr4 killed $vgpr5
	global_load_dword v2, v[6:7], off offset:88
	global_load_dword v3, v[6:7], off offset:448
	s_nop 0
	global_load_dword v4, v[6:7], off offset:808
	global_load_dword v5, v[6:7], off offset:1168
	;; [unrolled: 1-line block ×5, first 2 shown]
	s_movk_i32 s6, 0x59
	v_add_u32_e32 v6, 0, v11
	v_add_u32_e32 v7, 0x200, v6
	v_cmp_eq_u32_e32 vcc, s6, v10
	v_add_u32_e32 v11, 0x400, v6
	v_add_u32_e32 v40, 0x800, v6
	;; [unrolled: 1-line block ×13, first 2 shown]
	s_waitcnt vmcnt(23)
	ds_write2_b32 v7, v20, v14 offset0:52 offset1:142
	ds_write2_b32 v11, v15, v16 offset0:104 offset1:194
	;; [unrolled: 1-line block ×3, first 2 shown]
	s_waitcnt vmcnt(20)
	ds_write2_b32 v41, v22, v23 offset0:80 offset1:170
	s_waitcnt vmcnt(18)
	ds_write2_b32 v42, v24, v25 offset0:132 offset1:222
	ds_write2_b32 v6, v19, v21 offset1:90
	s_waitcnt vmcnt(16)
	ds_write2_b32 v43, v26, v27 offset0:56 offset1:146
	s_waitcnt vmcnt(14)
	ds_write2_b32 v44, v28, v29 offset0:108 offset1:198
	;; [unrolled: 2-line block ×9, first 2 shown]
	s_and_saveexec_b64 s[6:7], vcc
	s_cbranch_execz .LBB0_14
; %bb.13:
	v_add_co_u32_e32 v1, vcc, 0x2000, v1
	v_addc_co_u32_e32 v2, vcc, 0, v0, vcc
	global_load_dword v0, v[1:2], off offset:2608
	v_mov_b32_e32 v1, 0
	v_mov_b32_e32 v10, 0x59
	s_waitcnt vmcnt(0)
	ds_write_b32 v1, v0 offset:10800
.LBB0_14:
	s_or_b64 exec, exec, s[6:7]
.LBB0_15:
	s_or_b64 exec, exec, s[4:5]
	v_lshlrev_b32_e32 v0, 2, v10
	v_add_u32_e32 v21, 0, v0
	s_waitcnt lgkmcnt(0)
	s_barrier
	v_sub_u32_e32 v2, 0, v0
	ds_read_u16 v5, v21
	ds_read_u16 v6, v2 offset:10800
	s_add_u32 s6, s12, 0x2a24
	s_addc_u32 s7, s13, 0
	v_cmp_ne_u32_e32 vcc, 0, v10
                                        ; implicit-def: $vgpr0_vgpr1
	s_waitcnt lgkmcnt(0)
	v_add_f16_e32 v3, v6, v5
	v_sub_f16_e32 v4, v5, v6
	s_and_saveexec_b64 s[4:5], vcc
	s_xor_b64 s[4:5], exec, s[4:5]
	s_cbranch_execz .LBB0_17
; %bb.16:
	v_mov_b32_e32 v11, 0
	v_lshlrev_b64 v[0:1], 2, v[10:11]
	v_mov_b32_e32 v3, s7
	v_add_co_u32_e32 v0, vcc, s6, v0
	v_addc_co_u32_e32 v1, vcc, v3, v1, vcc
	global_load_dword v0, v[0:1], off
	ds_read_u16 v1, v2 offset:10802
	ds_read_u16 v3, v21 offset:2
	v_add_f16_e32 v4, v6, v5
	v_sub_f16_e32 v5, v5, v6
	s_waitcnt lgkmcnt(0)
	v_add_f16_e32 v6, v1, v3
	v_sub_f16_e32 v1, v3, v1
	s_waitcnt vmcnt(0)
	v_lshrrev_b32_e32 v3, 16, v0
	v_fma_f16 v7, v5, v3, v4
	v_fma_f16 v14, v6, v3, v1
	v_fma_f16 v15, -v5, v3, v4
	v_fma_f16 v1, v6, v3, -v1
	v_fma_f16 v3, -v0, v6, v7
	v_fma_f16 v4, v5, v0, v14
	v_fma_f16 v6, v0, v6, v15
	;; [unrolled: 1-line block ×3, first 2 shown]
	v_pack_b32_f16 v0, v6, v0
	ds_write_b32 v2, v0 offset:10800
	v_mov_b32_e32 v0, v10
	v_mov_b32_e32 v1, v11
.LBB0_17:
	s_andn2_saveexec_b64 s[4:5], s[4:5]
	s_cbranch_execz .LBB0_19
; %bb.18:
	v_mov_b32_e32 v5, 0
	ds_read_b32 v0, v5 offset:5400
	s_mov_b32 s8, 0xc0004000
	s_waitcnt lgkmcnt(0)
	v_pk_mul_f16 v6, v0, s8
	v_mov_b32_e32 v0, 0
	v_mov_b32_e32 v1, 0
	ds_write_b32 v5, v6 offset:5400
.LBB0_19:
	s_or_b64 exec, exec, s[4:5]
	v_lshlrev_b64 v[0:1], 2, v[0:1]
	v_mov_b32_e32 v5, s7
	v_add_co_u32_e32 v0, vcc, s6, v0
	v_addc_co_u32_e32 v1, vcc, v5, v1, vcc
	global_load_dword v5, v[0:1], off offset:360
	global_load_dword v6, v[0:1], off offset:720
	;; [unrolled: 1-line block ×4, first 2 shown]
	s_mov_b32 s4, 0x5040100
	v_perm_b32 v3, v4, v3, s4
	ds_write_b32 v21, v3
	ds_read_b32 v3, v21 offset:360
	ds_read_b32 v4, v2 offset:10440
	global_load_dword v14, v[0:1], off offset:1800
	global_load_dword v15, v[0:1], off offset:2160
	;; [unrolled: 1-line block ×4, first 2 shown]
	s_movk_i32 s4, 0x1000
	v_add_u32_e32 v33, 0xc00, v21
	v_add_u32_e32 v32, 0x1c00, v21
	s_waitcnt lgkmcnt(0)
	v_add_f16_e32 v18, v3, v4
	v_add_f16_sdwa v19, v4, v3 dst_sel:DWORD dst_unused:UNUSED_PAD src0_sel:WORD_1 src1_sel:WORD_1
	v_sub_f16_e32 v20, v3, v4
	v_sub_f16_sdwa v3, v3, v4 dst_sel:DWORD dst_unused:UNUSED_PAD src0_sel:WORD_1 src1_sel:WORD_1
	v_add_u32_e32 v34, 0x200, v21
	s_mov_b32 s5, 0xffff
	v_add_u32_e32 v30, 0x1000, v21
	v_add_u32_e32 v29, 0x1e00, v21
	;; [unrolled: 1-line block ×8, first 2 shown]
	s_mov_b32 s9, 0xbb9c
	s_movk_i32 s7, 0x3b9c
	s_mov_b32 s6, 0xb8b4
	s_movk_i32 s8, 0x34f2
	s_movk_i32 s14, 0x3a79
	;; [unrolled: 1-line block ×3, first 2 shown]
	s_waitcnt vmcnt(7)
	v_lshrrev_b32_e32 v4, 16, v5
	v_fma_f16 v22, v20, v4, v18
	v_fma_f16 v23, v19, v4, v3
	v_fma_f16 v18, -v20, v4, v18
	v_fma_f16 v3, v19, v4, -v3
	v_fma_f16 v4, -v5, v19, v22
	v_fma_f16 v22, v20, v5, v23
	v_fma_f16 v18, v5, v19, v18
	;; [unrolled: 1-line block ×3, first 2 shown]
	v_pack_b32_f16 v4, v4, v22
	v_pack_b32_f16 v3, v18, v3
	ds_write_b32 v21, v4 offset:360
	ds_write_b32 v2, v3 offset:10440
	ds_read_b32 v3, v21 offset:720
	ds_read_b32 v4, v2 offset:10080
	s_waitcnt vmcnt(6)
	v_lshrrev_b32_e32 v5, 16, v6
	v_add_u32_e32 v23, 0xa00, v21
	s_waitcnt lgkmcnt(0)
	v_add_f16_e32 v18, v3, v4
	v_add_f16_sdwa v19, v4, v3 dst_sel:DWORD dst_unused:UNUSED_PAD src0_sel:WORD_1 src1_sel:WORD_1
	v_sub_f16_e32 v20, v3, v4
	v_sub_f16_sdwa v3, v3, v4 dst_sel:DWORD dst_unused:UNUSED_PAD src0_sel:WORD_1 src1_sel:WORD_1
	v_fma_f16 v4, v20, v5, v18
	v_fma_f16 v22, v19, v5, v3
	v_fma_f16 v18, -v20, v5, v18
	v_fma_f16 v3, v19, v5, -v3
	v_fma_f16 v4, -v6, v19, v4
	v_fma_f16 v5, v20, v6, v22
	v_fma_f16 v18, v6, v19, v18
	;; [unrolled: 1-line block ×3, first 2 shown]
	v_pack_b32_f16 v4, v4, v5
	v_pack_b32_f16 v3, v18, v3
	ds_write_b32 v21, v4 offset:720
	ds_write_b32 v2, v3 offset:10080
	ds_read_b32 v3, v21 offset:1080
	ds_read_b32 v4, v2 offset:9720
	s_waitcnt vmcnt(5)
	v_lshrrev_b32_e32 v5, 16, v7
	v_add_u32_e32 v22, 0x2400, v21
	s_waitcnt lgkmcnt(0)
	v_add_f16_e32 v6, v3, v4
	v_add_f16_sdwa v18, v4, v3 dst_sel:DWORD dst_unused:UNUSED_PAD src0_sel:WORD_1 src1_sel:WORD_1
	v_sub_f16_e32 v19, v3, v4
	v_sub_f16_sdwa v3, v3, v4 dst_sel:DWORD dst_unused:UNUSED_PAD src0_sel:WORD_1 src1_sel:WORD_1
	v_fma_f16 v4, v19, v5, v6
	v_fma_f16 v20, v18, v5, v3
	v_fma_f16 v6, -v19, v5, v6
	v_fma_f16 v3, v18, v5, -v3
	v_fma_f16 v4, -v7, v18, v4
	v_fma_f16 v5, v19, v7, v20
	v_fma_f16 v6, v7, v18, v6
	;; [unrolled: 1-line block ×3, first 2 shown]
	v_pack_b32_f16 v4, v4, v5
	v_pack_b32_f16 v3, v6, v3
	ds_write_b32 v21, v4 offset:1080
	ds_write_b32 v2, v3 offset:9720
	ds_read_b32 v3, v21 offset:1440
	ds_read_b32 v4, v2 offset:9360
	s_waitcnt vmcnt(4)
	v_lshrrev_b32_e32 v5, 16, v11
	s_waitcnt lgkmcnt(0)
	v_add_f16_e32 v6, v3, v4
	v_add_f16_sdwa v7, v4, v3 dst_sel:DWORD dst_unused:UNUSED_PAD src0_sel:WORD_1 src1_sel:WORD_1
	v_sub_f16_e32 v18, v3, v4
	v_sub_f16_sdwa v3, v3, v4 dst_sel:DWORD dst_unused:UNUSED_PAD src0_sel:WORD_1 src1_sel:WORD_1
	v_fma_f16 v4, v18, v5, v6
	v_fma_f16 v19, v7, v5, v3
	v_fma_f16 v6, -v18, v5, v6
	v_fma_f16 v3, v7, v5, -v3
	v_fma_f16 v4, -v11, v7, v4
	v_fma_f16 v5, v18, v11, v19
	v_fma_f16 v6, v11, v7, v6
	;; [unrolled: 1-line block ×3, first 2 shown]
	v_pack_b32_f16 v4, v4, v5
	v_pack_b32_f16 v3, v6, v3
	ds_write_b32 v21, v4 offset:1440
	ds_write_b32 v2, v3 offset:9360
	ds_read_b32 v3, v21 offset:1800
	ds_read_b32 v4, v2 offset:9000
	s_waitcnt vmcnt(3)
	v_lshrrev_b32_e32 v5, 16, v14
	s_waitcnt lgkmcnt(0)
	v_add_f16_e32 v6, v3, v4
	v_add_f16_sdwa v7, v4, v3 dst_sel:DWORD dst_unused:UNUSED_PAD src0_sel:WORD_1 src1_sel:WORD_1
	v_sub_f16_e32 v11, v3, v4
	v_sub_f16_sdwa v3, v3, v4 dst_sel:DWORD dst_unused:UNUSED_PAD src0_sel:WORD_1 src1_sel:WORD_1
	v_fma_f16 v4, v11, v5, v6
	v_fma_f16 v18, v7, v5, v3
	v_fma_f16 v6, -v11, v5, v6
	v_fma_f16 v3, v7, v5, -v3
	v_fma_f16 v4, -v14, v7, v4
	v_fma_f16 v5, v11, v14, v18
	v_fma_f16 v6, v14, v7, v6
	v_fma_f16 v3, v11, v14, v3
	v_pack_b32_f16 v4, v4, v5
	v_pack_b32_f16 v3, v6, v3
	ds_write_b32 v21, v4 offset:1800
	ds_write_b32 v2, v3 offset:9000
	ds_read_b32 v3, v21 offset:2160
	ds_read_b32 v4, v2 offset:8640
	global_load_dword v5, v[0:1], off offset:3240
	s_waitcnt vmcnt(3)
	v_lshrrev_b32_e32 v6, 16, v15
	s_waitcnt lgkmcnt(0)
	v_add_f16_e32 v7, v3, v4
	v_add_f16_sdwa v11, v4, v3 dst_sel:DWORD dst_unused:UNUSED_PAD src0_sel:WORD_1 src1_sel:WORD_1
	v_sub_f16_e32 v14, v3, v4
	v_sub_f16_sdwa v3, v3, v4 dst_sel:DWORD dst_unused:UNUSED_PAD src0_sel:WORD_1 src1_sel:WORD_1
	v_fma_f16 v4, v14, v6, v7
	v_fma_f16 v18, v11, v6, v3
	v_fma_f16 v7, -v14, v6, v7
	v_fma_f16 v3, v11, v6, -v3
	v_fma_f16 v4, -v15, v11, v4
	v_fma_f16 v6, v14, v15, v18
	v_fma_f16 v7, v15, v11, v7
	v_fma_f16 v3, v14, v15, v3
	v_pack_b32_f16 v4, v4, v6
	v_pack_b32_f16 v3, v7, v3
	ds_write_b32 v21, v4 offset:2160
	ds_write_b32 v2, v3 offset:8640
	ds_read_b32 v3, v21 offset:2520
	ds_read_b32 v4, v2 offset:8280
	global_load_dword v6, v[0:1], off offset:3600
	;; [unrolled: 22-line block ×3, first 2 shown]
	v_add_co_u32_e32 v0, vcc, s4, v0
	v_addc_co_u32_e32 v1, vcc, 0, v1, vcc
	s_waitcnt lgkmcnt(0)
	v_add_f16_e32 v7, v3, v4
	v_add_f16_sdwa v14, v4, v3 dst_sel:DWORD dst_unused:UNUSED_PAD src0_sel:WORD_1 src1_sel:WORD_1
	v_sub_f16_e32 v15, v3, v4
	v_sub_f16_sdwa v3, v3, v4 dst_sel:DWORD dst_unused:UNUSED_PAD src0_sel:WORD_1 src1_sel:WORD_1
	s_waitcnt vmcnt(3)
	v_lshrrev_b32_e32 v4, 16, v17
	v_fma_f16 v16, v15, v4, v7
	v_fma_f16 v18, v14, v4, v3
	v_fma_f16 v7, -v15, v4, v7
	v_fma_f16 v3, v14, v4, -v3
	v_fma_f16 v16, -v17, v14, v16
	v_fma_f16 v18, v15, v17, v18
	v_fma_f16 v7, v17, v14, v7
	;; [unrolled: 1-line block ×3, first 2 shown]
	v_pack_b32_f16 v16, v16, v18
	v_pack_b32_f16 v3, v7, v3
	ds_write_b32 v21, v16 offset:2880
	ds_write_b32 v2, v3 offset:7920
	ds_read_b32 v3, v21 offset:3240
	ds_read_b32 v4, v2 offset:7560
	global_load_dword v7, v[0:1], off offset:224
	s_movk_i32 s4, 0x3aee
	s_waitcnt lgkmcnt(0)
	v_add_f16_e32 v14, v3, v4
	v_add_f16_sdwa v15, v4, v3 dst_sel:DWORD dst_unused:UNUSED_PAD src0_sel:WORD_1 src1_sel:WORD_1
	v_sub_f16_e32 v16, v3, v4
	v_sub_f16_sdwa v3, v3, v4 dst_sel:DWORD dst_unused:UNUSED_PAD src0_sel:WORD_1 src1_sel:WORD_1
	global_load_dword v4, v[0:1], off offset:584
	global_load_dword v17, v[0:1], off offset:944
	s_waitcnt vmcnt(5)
	v_lshrrev_b32_e32 v0, 16, v5
	v_fma_f16 v1, v16, v0, v14
	v_fma_f16 v18, v15, v0, v3
	v_fma_f16 v1, -v5, v15, v1
	v_fma_f16 v18, v16, v5, v18
	v_pack_b32_f16 v1, v1, v18
	ds_write_b32 v21, v1 offset:3240
	v_fma_f16 v1, -v16, v0, v14
	v_fma_f16 v0, v15, v0, -v3
	v_fma_f16 v1, v5, v15, v1
	v_fma_f16 v0, v16, v5, v0
	v_pack_b32_f16 v0, v1, v0
	ds_write_b32 v2, v0 offset:7560
	ds_read_b32 v0, v21 offset:3600
	ds_read_b32 v1, v2 offset:7200
	s_waitcnt lgkmcnt(0)
	v_add_f16_e32 v3, v0, v1
	v_add_f16_sdwa v5, v1, v0 dst_sel:DWORD dst_unused:UNUSED_PAD src0_sel:WORD_1 src1_sel:WORD_1
	v_sub_f16_e32 v14, v0, v1
	v_sub_f16_sdwa v0, v0, v1 dst_sel:DWORD dst_unused:UNUSED_PAD src0_sel:WORD_1 src1_sel:WORD_1
	s_waitcnt vmcnt(4)
	v_lshrrev_b32_e32 v1, 16, v6
	v_fma_f16 v15, v14, v1, v3
	v_fma_f16 v16, v5, v1, v0
	v_fma_f16 v3, -v14, v1, v3
	v_fma_f16 v0, v5, v1, -v0
	v_fma_f16 v15, -v6, v5, v15
	v_fma_f16 v16, v14, v6, v16
	v_fma_f16 v3, v6, v5, v3
	v_fma_f16 v0, v14, v6, v0
	v_pack_b32_f16 v15, v15, v16
	v_pack_b32_f16 v0, v3, v0
	ds_write_b32 v21, v15 offset:3600
	ds_write_b32 v2, v0 offset:7200
	ds_read_b32 v0, v21 offset:3960
	ds_read_b32 v1, v2 offset:6840
	s_waitcnt lgkmcnt(0)
	v_add_f16_e32 v3, v0, v1
	v_add_f16_sdwa v5, v1, v0 dst_sel:DWORD dst_unused:UNUSED_PAD src0_sel:WORD_1 src1_sel:WORD_1
	v_sub_f16_e32 v6, v0, v1
	v_sub_f16_sdwa v0, v0, v1 dst_sel:DWORD dst_unused:UNUSED_PAD src0_sel:WORD_1 src1_sel:WORD_1
	s_waitcnt vmcnt(3)
	v_lshrrev_b32_e32 v1, 16, v11
	v_fma_f16 v14, v6, v1, v3
	v_fma_f16 v15, v5, v1, v0
	v_fma_f16 v3, -v6, v1, v3
	v_fma_f16 v0, v5, v1, -v0
	v_fma_f16 v14, -v11, v5, v14
	v_fma_f16 v15, v6, v11, v15
	v_fma_f16 v3, v11, v5, v3
	v_fma_f16 v0, v6, v11, v0
	v_pack_b32_f16 v14, v14, v15
	v_pack_b32_f16 v0, v3, v0
	ds_write_b32 v21, v14 offset:3960
	;; [unrolled: 21-line block ×4, first 2 shown]
	ds_write_b32 v2, v0 offset:6120
	ds_read_b32 v0, v21 offset:5040
	ds_read_b32 v1, v2 offset:5760
	v_add_u32_e32 v11, 0x1400, v21
	s_waitcnt lgkmcnt(0)
	v_add_f16_e32 v3, v0, v1
	v_add_f16_sdwa v4, v1, v0 dst_sel:DWORD dst_unused:UNUSED_PAD src0_sel:WORD_1 src1_sel:WORD_1
	v_sub_f16_e32 v5, v0, v1
	v_sub_f16_sdwa v0, v0, v1 dst_sel:DWORD dst_unused:UNUSED_PAD src0_sel:WORD_1 src1_sel:WORD_1
	s_waitcnt vmcnt(0)
	v_lshrrev_b32_e32 v1, 16, v17
	v_fma_f16 v6, v5, v1, v3
	v_fma_f16 v7, v4, v1, v0
	v_fma_f16 v3, -v5, v1, v3
	v_fma_f16 v0, v4, v1, -v0
	v_fma_f16 v6, -v17, v4, v6
	v_fma_f16 v7, v5, v17, v7
	v_fma_f16 v3, v17, v4, v3
	;; [unrolled: 1-line block ×3, first 2 shown]
	v_pack_b32_f16 v6, v6, v7
	v_pack_b32_f16 v0, v3, v0
	ds_write_b32 v21, v6 offset:5040
	ds_write_b32 v2, v0 offset:5760
	s_waitcnt lgkmcnt(0)
	s_barrier
	s_barrier
	ds_read2_b32 v[0:1], v21 offset1:90
	ds_read2_b32 v[2:3], v33 offset0:132 offset1:222
	ds_read2_b32 v[4:5], v32 offset0:8 offset1:98
	s_waitcnt lgkmcnt(1)
	v_pk_add_f16 v6, v1, v3
	s_waitcnt lgkmcnt(0)
	v_pk_add_f16 v7, v6, v5
	v_pk_add_f16 v6, v3, v5
	v_pk_fma_f16 v1, v6, 0.5, v1 op_sel_hi:[1,0,1] neg_lo:[1,0,0] neg_hi:[1,0,0]
	v_pk_add_f16 v3, v3, v5 neg_lo:[0,1] neg_hi:[0,1]
	ds_read2_b32 v[5:6], v34 offset0:52 offset1:142
	v_pk_mul_f16 v3, v3, s4 op_sel_hi:[1,0]
	v_pk_add_f16 v20, v1, v3 op_sel:[0,1] op_sel_hi:[1,0]
	v_pk_add_f16 v1, v1, v3 op_sel:[0,1] op_sel_hi:[1,0] neg_lo:[0,1] neg_hi:[0,1]
	v_mad_u32_u24 v3, v10, 12, 0
	v_add_u32_e32 v51, 0x438, v3
	v_bfi_b32 v52, s5, v20, v1
	ds_read2_b32 v[14:15], v30 offset0:56 offset1:146
	ds_read2_b32 v[16:17], v29 offset0:60 offset1:150
	;; [unrolled: 1-line block ×11, first 2 shown]
	s_waitcnt lgkmcnt(0)
	s_barrier
	ds_write2_b32 v51, v7, v52 offset1:1
	v_pk_add_f16 v7, v14, v16
	v_pk_add_f16 v51, v14, v16 neg_lo:[0,1] neg_hi:[0,1]
	v_pk_fma_f16 v7, v7, 0.5, v5 op_sel_hi:[1,0,1] neg_lo:[1,0,0] neg_hi:[1,0,0]
	v_pk_mul_f16 v51, v51, s4 op_sel_hi:[1,0]
	v_pk_add_f16 v52, v7, v51 op_sel:[0,1] op_sel_hi:[1,0]
	v_pk_add_f16 v7, v7, v51 op_sel:[0,1] op_sel_hi:[1,0] neg_lo:[0,1] neg_hi:[0,1]
	v_pk_add_f16 v5, v5, v14
	v_pk_add_f16 v5, v5, v16
	v_add_u32_e32 v14, 0x870, v3
	v_bfi_b32 v16, s5, v52, v7
	ds_write2_b32 v14, v5, v16 offset1:1
	v_pk_add_f16 v5, v6, v15
	v_pk_add_f16 v14, v15, v17
	v_pk_add_f16 v15, v15, v17 neg_lo:[0,1] neg_hi:[0,1]
	v_pk_fma_f16 v6, v14, 0.5, v6 op_sel_hi:[1,0,1] neg_lo:[1,0,0] neg_hi:[1,0,0]
	v_pk_mul_f16 v14, v15, s4 op_sel_hi:[1,0]
	v_pk_add_f16 v15, v6, v14 op_sel:[0,1] op_sel_hi:[1,0]
	v_pk_add_f16 v6, v6, v14 op_sel:[0,1] op_sel_hi:[1,0] neg_lo:[0,1] neg_hi:[0,1]
	v_pk_add_f16 v5, v5, v17
	v_add_u32_e32 v14, 0xca8, v3
	v_bfi_b32 v16, s5, v15, v6
	ds_write2_b32 v14, v5, v16 offset1:1
	v_pk_add_f16 v5, v35, v37
	v_pk_add_f16 v14, v35, v37 neg_lo:[0,1] neg_hi:[0,1]
	v_pk_fma_f16 v5, v5, 0.5, v18 op_sel_hi:[1,0,1] neg_lo:[1,0,0] neg_hi:[1,0,0]
	v_pk_mul_f16 v14, v14, s4 op_sel_hi:[1,0]
	v_pk_add_f16 v16, v5, v14 op_sel:[0,1] op_sel_hi:[1,0]
	v_pk_add_f16 v5, v5, v14 op_sel:[0,1] op_sel_hi:[1,0] neg_lo:[0,1] neg_hi:[0,1]
	v_pk_add_f16 v14, v18, v35
	v_pk_add_f16 v14, v14, v37
	v_add_u32_e32 v17, 0x10e0, v3
	v_bfi_b32 v18, s5, v16, v5
	ds_write2_b32 v17, v14, v18 offset1:1
	v_pk_add_f16 v14, v0, v2
	v_pk_add_f16 v17, v2, v4
	v_pk_add_f16 v2, v2, v4 neg_lo:[0,1] neg_hi:[0,1]
	v_pk_fma_f16 v0, v17, 0.5, v0 op_sel_hi:[1,0,1] neg_lo:[1,0,0] neg_hi:[1,0,0]
	v_pk_add_f16 v17, v36, v38
	v_pk_mul_f16 v2, v2, s4 op_sel_hi:[1,0]
	v_pk_add_f16 v4, v14, v4
	v_pk_add_f16 v14, v19, v36
	v_pk_fma_f16 v17, v17, 0.5, v19 op_sel_hi:[1,0,1] neg_lo:[1,0,0] neg_hi:[1,0,0]
	v_pk_add_f16 v19, v0, v2 op_sel:[0,1] op_sel_hi:[1,0]
	v_pk_add_f16 v0, v0, v2 op_sel:[0,1] op_sel_hi:[1,0] neg_lo:[0,1] neg_hi:[0,1]
	v_pk_add_f16 v18, v36, v38 neg_lo:[0,1] neg_hi:[0,1]
	v_bfi_b32 v2, s5, v19, v0
	ds_write2_b32 v3, v4, v2 offset1:1
	v_bfi_b32 v4, s5, v6, v15
	v_pk_mul_f16 v6, v18, s4 op_sel_hi:[1,0]
	v_bfi_b32 v0, s5, v0, v19
	v_bfi_b32 v2, s5, v7, v52
	v_pk_add_f16 v7, v17, v6 op_sel:[0,1] op_sel_hi:[1,0]
	v_pk_add_f16 v6, v17, v6 op_sel:[0,1] op_sel_hi:[1,0] neg_lo:[0,1] neg_hi:[0,1]
	v_pk_add_f16 v14, v14, v38
	v_bfi_b32 v1, s5, v1, v20
	v_bfi_b32 v5, s5, v5, v16
	;; [unrolled: 1-line block ×4, first 2 shown]
	ds_write_b32 v3, v0 offset:8
	ds_write_b32 v3, v1 offset:1088
	;; [unrolled: 1-line block ×6, first 2 shown]
	v_add_u32_e32 v0, 0x151c, v3
	ds_write2_b32 v0, v15, v6 offset1:1
	v_pk_add_f16 v0, v41, v43
	v_pk_add_f16 v1, v41, v43 neg_lo:[0,1] neg_hi:[0,1]
	v_pk_fma_f16 v0, v0, 0.5, v39 op_sel_hi:[1,0,1] neg_lo:[1,0,0] neg_hi:[1,0,0]
	v_pk_mul_f16 v1, v1, s4 op_sel_hi:[1,0]
	v_pk_add_f16 v2, v0, v1 op_sel:[0,1] op_sel_hi:[1,0]
	v_pk_add_f16 v0, v0, v1 op_sel:[0,1] op_sel_hi:[1,0] neg_lo:[0,1] neg_hi:[0,1]
	v_bfi_b32 v1, s5, v2, v0
	v_bfi_b32 v0, s5, v0, v2
	v_pk_add_f16 v2, v39, v41
	v_pk_add_f16 v2, v2, v43
	ds_write_b32 v3, v2 offset:6480
	v_add_u32_e32 v2, 0x1954, v3
	ds_write2_b32 v2, v1, v0 offset1:1
	v_pk_add_f16 v1, v42, v44
	v_pk_add_f16 v2, v42, v44 neg_lo:[0,1] neg_hi:[0,1]
	v_pk_fma_f16 v1, v1, 0.5, v40 op_sel_hi:[1,0,1] neg_lo:[1,0,0] neg_hi:[1,0,0]
	v_pk_mul_f16 v2, v2, s4 op_sel_hi:[1,0]
	v_pk_add_f16 v0, v40, v42
	v_pk_add_f16 v4, v1, v2 op_sel:[0,1] op_sel_hi:[1,0]
	v_pk_add_f16 v1, v1, v2 op_sel:[0,1] op_sel_hi:[1,0] neg_lo:[0,1] neg_hi:[0,1]
	v_pk_add_f16 v0, v0, v44
	v_bfi_b32 v2, s5, v4, v1
	v_bfi_b32 v1, s5, v1, v4
	v_add_u32_e32 v4, 0x1d8c, v3
	ds_write_b32 v3, v0 offset:7560
	ds_write2_b32 v4, v2, v1 offset1:1
	v_pk_add_f16 v1, v47, v49
	v_pk_add_f16 v2, v47, v49 neg_lo:[0,1] neg_hi:[0,1]
	v_pk_add_f16 v0, v45, v47
	v_pk_fma_f16 v1, v1, 0.5, v45 op_sel_hi:[1,0,1] neg_lo:[1,0,0] neg_hi:[1,0,0]
	v_pk_mul_f16 v2, v2, s4 op_sel_hi:[1,0]
	v_pk_add_f16 v0, v0, v49
	v_pk_add_f16 v4, v1, v2 op_sel:[0,1] op_sel_hi:[1,0]
	v_pk_add_f16 v1, v1, v2 op_sel:[0,1] op_sel_hi:[1,0] neg_lo:[0,1] neg_hi:[0,1]
	v_bfi_b32 v2, s5, v4, v1
	v_bfi_b32 v1, s5, v1, v4
	v_add_u32_e32 v4, 0x21c4, v3
	ds_write_b32 v3, v0 offset:8640
	v_pk_add_f16 v0, v46, v48
	v_pk_add_f16 v0, v0, v50
	ds_write2_b32 v4, v2, v1 offset1:1
	ds_write_b32 v3, v0 offset:9720
	v_pk_add_f16 v1, v48, v50
	v_pk_add_f16 v2, v48, v50 neg_lo:[0,1] neg_hi:[0,1]
	v_pk_fma_f16 v1, v1, 0.5, v46 op_sel_hi:[1,0,1] neg_lo:[1,0,0] neg_hi:[1,0,0]
	v_pk_mul_f16 v2, v2, s4 op_sel_hi:[1,0]
	v_add_u32_e32 v0, 0x25fc, v3
	v_pk_add_f16 v3, v1, v2 op_sel:[0,1] op_sel_hi:[1,0]
	v_pk_add_f16 v1, v1, v2 op_sel:[0,1] op_sel_hi:[1,0] neg_lo:[0,1] neg_hi:[0,1]
	v_bfi_b32 v2, s5, v3, v1
	v_bfi_b32 v1, s5, v1, v3
	s_movk_i32 s5, 0xab
	ds_write2_b32 v0, v2, v1 offset1:1
	v_mul_lo_u16_sdwa v0, v10, s5 dst_sel:DWORD dst_unused:UNUSED_PAD src0_sel:BYTE_0 src1_sel:DWORD
	v_lshrrev_b16_e32 v37, 9, v0
	v_mul_lo_u16_e32 v0, 3, v37
	v_sub_u16_e32 v51, v10, v0
	v_mov_b32_e32 v38, 9
	v_mul_u32_u24_sdwa v0, v51, v38 dst_sel:DWORD dst_unused:UNUSED_PAD src0_sel:BYTE_0 src1_sel:DWORD
	v_lshlrev_b32_e32 v20, 2, v0
	s_waitcnt lgkmcnt(0)
	s_barrier
	global_load_dwordx4 v[2:5], v20, s[12:13]
	v_add_u32_e32 v35, 0x5a, v10
	v_mul_lo_u16_sdwa v0, v35, s5 dst_sel:DWORD dst_unused:UNUSED_PAD src0_sel:BYTE_0 src1_sel:DWORD
	v_lshrrev_b16_e32 v41, 9, v0
	v_mul_lo_u16_e32 v0, 3, v41
	v_sub_u16_e32 v42, v35, v0
	v_mul_u32_u24_sdwa v0, v42, v38 dst_sel:DWORD dst_unused:UNUSED_PAD src0_sel:BYTE_0 src1_sel:DWORD
	v_lshlrev_b32_e32 v65, 2, v0
	global_load_dwordx4 v[16:19], v65, s[12:13]
	s_mov_b32 s5, 0xaaab
	v_add_u32_e32 v36, 0xb4, v10
	v_mul_u32_u24_sdwa v0, v36, s5 dst_sel:DWORD dst_unused:UNUSED_PAD src0_sel:WORD_0 src1_sel:DWORD
	v_lshrrev_b32_e32 v39, 17, v0
	v_mul_lo_u16_e32 v0, 3, v39
	v_sub_u16_e32 v40, v36, v0
	v_mul_u32_u24_e32 v0, 9, v40
	v_lshlrev_b32_e32 v58, 2, v0
	global_load_dwordx4 v[70:73], v58, s[12:13]
	global_load_dwordx4 v[76:79], v20, s[12:13] offset:16
	ds_read2_b32 v[14:15], v34 offset0:52 offset1:142
	ds_read2_b32 v[6:7], v28 offset0:28 offset1:118
	;; [unrolled: 1-line block ×4, first 2 shown]
	global_load_dword v75, v20, s[12:13] offset:32
	s_waitcnt lgkmcnt(3)
	v_lshrrev_b32_e32 v0, 16, v15
	s_movk_i32 s5, 0x38b4
	v_mul_u32_u24_e32 v41, 0x78, v41
	v_mul_u32_u24_e32 v39, 0x78, v39
	v_lshlrev_b32_e32 v40, 2, v40
	v_add3_u32 v39, 0, v39, v40
	s_waitcnt vmcnt(4)
	v_mul_f16_sdwa v1, v2, v15 dst_sel:DWORD dst_unused:UNUSED_PAD src0_sel:WORD_1 src1_sel:DWORD
	v_fma_f16 v52, v2, v0, v1
	v_mul_f16_sdwa v0, v2, v0 dst_sel:DWORD dst_unused:UNUSED_PAD src0_sel:WORD_1 src1_sel:DWORD
	v_fma_f16 v53, v2, v15, -v0
	s_waitcnt lgkmcnt(2)
	v_lshrrev_b32_e32 v0, 16, v6
	v_mul_f16_sdwa v1, v6, v3 dst_sel:DWORD dst_unused:UNUSED_PAD src0_sel:DWORD src1_sel:WORD_1
	v_fma_f16 v56, v0, v3, v1
	v_mul_f16_sdwa v0, v0, v3 dst_sel:DWORD dst_unused:UNUSED_PAD src0_sel:DWORD src1_sel:WORD_1
	v_fma_f16 v63, v6, v3, -v0
	global_load_dwordx4 v[0:3], v65, s[12:13] offset:16
	s_waitcnt lgkmcnt(1)
	v_lshrrev_b32_e32 v6, 16, v46
	v_mul_f16_sdwa v15, v46, v4 dst_sel:DWORD dst_unused:UNUSED_PAD src0_sel:DWORD src1_sel:WORD_1
	v_fma_f16 v66, v6, v4, v15
	v_mul_f16_sdwa v6, v6, v4 dst_sel:DWORD dst_unused:UNUSED_PAD src0_sel:DWORD src1_sel:WORD_1
	v_fma_f16 v67, v46, v4, -v6
	s_waitcnt lgkmcnt(0)
	v_lshrrev_b32_e32 v4, 16, v43
	v_mul_f16_sdwa v6, v43, v5 dst_sel:DWORD dst_unused:UNUSED_PAD src0_sel:DWORD src1_sel:WORD_1
	v_fma_f16 v68, v4, v5, v6
	v_mul_f16_sdwa v4, v4, v5 dst_sel:DWORD dst_unused:UNUSED_PAD src0_sel:DWORD src1_sel:WORD_1
	v_fma_f16 v69, v43, v5, -v4
	v_lshrrev_b32_e32 v4, 16, v7
	s_waitcnt vmcnt(4)
	v_mul_f16_sdwa v5, v4, v17 dst_sel:DWORD dst_unused:UNUSED_PAD src0_sel:DWORD src1_sel:WORD_1
	v_fma_f16 v62, v7, v17, -v5
	v_mul_f16_sdwa v5, v7, v17 dst_sel:DWORD dst_unused:UNUSED_PAD src0_sel:DWORD src1_sel:WORD_1
	v_fma_f16 v57, v4, v17, v5
	v_lshrrev_b32_e32 v4, 16, v44
	v_mul_f16_sdwa v5, v4, v19 dst_sel:DWORD dst_unused:UNUSED_PAD src0_sel:DWORD src1_sel:WORD_1
	v_fma_f16 v64, v44, v19, -v5
	v_mul_f16_sdwa v5, v44, v19 dst_sel:DWORD dst_unused:UNUSED_PAD src0_sel:DWORD src1_sel:WORD_1
	v_fma_f16 v60, v4, v19, v5
	global_load_dwordx4 v[4:7], v58, s[12:13] offset:16
	ds_read2_b32 v[46:47], v31 offset0:104 offset1:194
	global_load_dword v58, v58, s[12:13] offset:32
	ds_read2_b32 v[19:20], v33 offset0:132 offset1:222
	global_load_dword v65, v65, s[12:13] offset:32
	s_waitcnt lgkmcnt(1)
	v_lshrrev_b32_e32 v15, 16, v46
	v_mul_f16_sdwa v17, v46, v16 dst_sel:DWORD dst_unused:UNUSED_PAD src0_sel:DWORD src1_sel:WORD_1
	v_fma_f16 v54, v15, v16, v17
	v_mul_f16_sdwa v15, v15, v16 dst_sel:DWORD dst_unused:UNUSED_PAD src0_sel:DWORD src1_sel:WORD_1
	v_fma_f16 v59, v46, v16, -v15
	s_waitcnt lgkmcnt(0)
	v_lshrrev_b32_e32 v15, 16, v19
	v_mul_f16_sdwa v16, v19, v18 dst_sel:DWORD dst_unused:UNUSED_PAD src0_sel:DWORD src1_sel:WORD_1
	v_fma_f16 v55, v15, v18, v16
	v_mul_f16_sdwa v15, v15, v18 dst_sel:DWORD dst_unused:UNUSED_PAD src0_sel:DWORD src1_sel:WORD_1
	v_fma_f16 v61, v19, v18, -v15
	v_lshrrev_b32_e32 v15, 16, v47
	s_waitcnt vmcnt(6)
	v_mul_f16_sdwa v16, v15, v70 dst_sel:DWORD dst_unused:UNUSED_PAD src0_sel:DWORD src1_sel:WORD_1
	v_fma_f16 v44, v47, v70, -v16
	v_mul_f16_sdwa v16, v47, v70 dst_sel:DWORD dst_unused:UNUSED_PAD src0_sel:DWORD src1_sel:WORD_1
	v_fma_f16 v43, v15, v70, v16
	v_lshrrev_b32_e32 v15, 16, v45
	v_mul_f16_sdwa v16, v15, v71 dst_sel:DWORD dst_unused:UNUSED_PAD src0_sel:DWORD src1_sel:WORD_1
	v_fma_f16 v48, v45, v71, -v16
	v_mul_f16_sdwa v16, v45, v71 dst_sel:DWORD dst_unused:UNUSED_PAD src0_sel:DWORD src1_sel:WORD_1
	v_fma_f16 v47, v15, v71, v16
	ds_read2_b32 v[15:16], v27 offset0:108 offset1:198
	v_lshrrev_b32_e32 v17, 16, v20
	v_mul_f16_sdwa v18, v17, v72 dst_sel:DWORD dst_unused:UNUSED_PAD src0_sel:DWORD src1_sel:WORD_1
	v_fma_f16 v46, v20, v72, -v18
	v_mul_f16_sdwa v18, v20, v72 dst_sel:DWORD dst_unused:UNUSED_PAD src0_sel:DWORD src1_sel:WORD_1
	v_fma_f16 v45, v17, v72, v18
	s_waitcnt lgkmcnt(0)
	v_lshrrev_b32_e32 v17, 16, v15
	v_mul_f16_sdwa v18, v15, v73 dst_sel:DWORD dst_unused:UNUSED_PAD src0_sel:DWORD src1_sel:WORD_1
	v_fma_f16 v49, v17, v73, v18
	v_mul_f16_sdwa v17, v17, v73 dst_sel:DWORD dst_unused:UNUSED_PAD src0_sel:DWORD src1_sel:WORD_1
	v_fma_f16 v50, v15, v73, -v17
	ds_read2_b32 v[17:18], v24 offset0:84 offset1:174
	v_lshrrev_b32_e32 v15, 16, v16
	s_waitcnt vmcnt(5)
	v_mul_f16_sdwa v19, v15, v76 dst_sel:DWORD dst_unused:UNUSED_PAD src0_sel:DWORD src1_sel:WORD_1
	v_fma_f16 v71, v16, v76, -v19
	v_mul_f16_sdwa v16, v16, v76 dst_sel:DWORD dst_unused:UNUSED_PAD src0_sel:DWORD src1_sel:WORD_1
	v_fma_f16 v70, v15, v76, v16
	s_waitcnt lgkmcnt(0)
	v_lshrrev_b32_e32 v19, 16, v17
	ds_read2_b32 v[15:16], v32 offset0:8 offset1:98
	v_mul_f16_sdwa v20, v17, v77 dst_sel:DWORD dst_unused:UNUSED_PAD src0_sel:DWORD src1_sel:WORD_1
	v_fma_f16 v72, v19, v77, v20
	v_mul_f16_sdwa v19, v19, v77 dst_sel:DWORD dst_unused:UNUSED_PAD src0_sel:DWORD src1_sel:WORD_1
	v_fma_f16 v74, v17, v77, -v19
	ds_read2_b32 v[19:20], v26 offset0:112 offset1:202
	s_waitcnt lgkmcnt(1)
	v_lshrrev_b32_e32 v73, 16, v16
	v_mul_f16_sdwa v17, v16, v78 dst_sel:DWORD dst_unused:UNUSED_PAD src0_sel:DWORD src1_sel:WORD_1
	v_fma_f16 v17, v73, v78, v17
	v_mul_f16_sdwa v73, v73, v78 dst_sel:DWORD dst_unused:UNUSED_PAD src0_sel:DWORD src1_sel:WORD_1
	v_fma_f16 v16, v16, v78, -v73
	s_waitcnt lgkmcnt(0)
	v_lshrrev_b32_e32 v76, 16, v19
	v_mul_f16_sdwa v73, v19, v79 dst_sel:DWORD dst_unused:UNUSED_PAD src0_sel:DWORD src1_sel:WORD_1
	v_fma_f16 v73, v76, v79, v73
	v_mul_f16_sdwa v76, v76, v79 dst_sel:DWORD dst_unused:UNUSED_PAD src0_sel:DWORD src1_sel:WORD_1
	v_fma_f16 v19, v19, v79, -v76
	v_lshrrev_b32_e32 v76, 16, v18
	s_waitcnt vmcnt(3)
	v_mul_f16_sdwa v77, v76, v1 dst_sel:DWORD dst_unused:UNUSED_PAD src0_sel:DWORD src1_sel:WORD_1
	v_fma_f16 v80, v18, v1, -v77
	v_mul_f16_sdwa v18, v18, v1 dst_sel:DWORD dst_unused:UNUSED_PAD src0_sel:DWORD src1_sel:WORD_1
	v_fma_f16 v18, v76, v1, v18
	v_lshrrev_b32_e32 v1, 16, v20
	ds_read2_b32 v[76:77], v11 offset0:160 offset1:250
	v_mul_f16_sdwa v78, v1, v3 dst_sel:DWORD dst_unused:UNUSED_PAD src0_sel:DWORD src1_sel:WORD_1
	v_fma_f16 v81, v20, v3, -v78
	ds_read2_b32 v[78:79], v29 offset0:60 offset1:150
	v_mul_f16_sdwa v20, v20, v3 dst_sel:DWORD dst_unused:UNUSED_PAD src0_sel:DWORD src1_sel:WORD_1
	v_fma_f16 v20, v1, v3, v20
	s_waitcnt lgkmcnt(1)
	v_lshrrev_b32_e32 v1, 16, v76
	v_mul_f16_sdwa v3, v76, v0 dst_sel:DWORD dst_unused:UNUSED_PAD src0_sel:DWORD src1_sel:WORD_1
	v_fma_f16 v82, v1, v0, v3
	v_mul_f16_sdwa v1, v1, v0 dst_sel:DWORD dst_unused:UNUSED_PAD src0_sel:DWORD src1_sel:WORD_1
	v_fma_f16 v76, v76, v0, -v1
	s_waitcnt lgkmcnt(0)
	v_lshrrev_b32_e32 v0, 16, v78
	v_mul_f16_sdwa v1, v78, v2 dst_sel:DWORD dst_unused:UNUSED_PAD src0_sel:DWORD src1_sel:WORD_1
	v_fma_f16 v83, v0, v2, v1
	v_mul_f16_sdwa v0, v0, v2 dst_sel:DWORD dst_unused:UNUSED_PAD src0_sel:DWORD src1_sel:WORD_1
	v_fma_f16 v78, v78, v2, -v0
	v_lshrrev_b32_e32 v0, 16, v77
	s_waitcnt vmcnt(2)
	v_mul_f16_sdwa v1, v0, v4 dst_sel:DWORD dst_unused:UNUSED_PAD src0_sel:DWORD src1_sel:WORD_1
	v_fma_f16 v84, v77, v4, -v1
	v_mul_f16_sdwa v1, v77, v4 dst_sel:DWORD dst_unused:UNUSED_PAD src0_sel:DWORD src1_sel:WORD_1
	v_fma_f16 v4, v0, v4, v1
	v_lshrrev_b32_e32 v0, 16, v15
	v_mul_f16_sdwa v1, v0, v5 dst_sel:DWORD dst_unused:UNUSED_PAD src0_sel:DWORD src1_sel:WORD_1
	v_fma_f16 v77, v15, v5, -v1
	v_mul_f16_sdwa v1, v15, v5 dst_sel:DWORD dst_unused:UNUSED_PAD src0_sel:DWORD src1_sel:WORD_1
	v_fma_f16 v5, v0, v5, v1
	ds_read2_b32 v[0:1], v22 offset0:36 offset1:126
	v_lshrrev_b32_e32 v2, 16, v79
	v_mul_f16_sdwa v3, v2, v6 dst_sel:DWORD dst_unused:UNUSED_PAD src0_sel:DWORD src1_sel:WORD_1
	v_fma_f16 v15, v79, v6, -v3
	v_mul_f16_sdwa v3, v79, v6 dst_sel:DWORD dst_unused:UNUSED_PAD src0_sel:DWORD src1_sel:WORD_1
	v_fma_f16 v6, v2, v6, v3
	s_waitcnt lgkmcnt(0)
	v_lshrrev_b32_e32 v2, 16, v0
	v_mul_f16_sdwa v3, v0, v7 dst_sel:DWORD dst_unused:UNUSED_PAD src0_sel:DWORD src1_sel:WORD_1
	v_fma_f16 v79, v2, v7, v3
	v_mul_f16_sdwa v2, v2, v7 dst_sel:DWORD dst_unused:UNUSED_PAD src0_sel:DWORD src1_sel:WORD_1
	v_fma_f16 v7, v0, v7, -v2
	v_lshrrev_b32_e32 v0, 16, v1
	v_mul_f16_sdwa v2, v0, v75 dst_sel:DWORD dst_unused:UNUSED_PAD src0_sel:DWORD src1_sel:WORD_1
	v_fma_f16 v85, v1, v75, -v2
	v_mul_f16_sdwa v1, v1, v75 dst_sel:DWORD dst_unused:UNUSED_PAD src0_sel:DWORD src1_sel:WORD_1
	v_fma_f16 v75, v0, v75, v1
	v_sub_f16_e32 v0, v63, v69
	v_sub_f16_e32 v1, v19, v74
	v_add_f16_e32 v86, v0, v1
	v_sub_f16_e32 v0, v56, v68
	v_sub_f16_e32 v1, v73, v72
	v_add_f16_e32 v87, v0, v1
	;; [unrolled: 3-line block ×4, first 2 shown]
	v_add_f16_e32 v1, v70, v17
	v_add_f16_e32 v0, v71, v16
	v_fma_f16 v93, v1, -0.5, v52
	v_sub_f16_e32 v94, v67, v85
	v_fma_f16 v90, v0, -0.5, v53
	v_sub_f16_e32 v91, v66, v75
	v_fma_f16 v1, v94, s9, v93
	v_sub_f16_e32 v95, v71, v16
	v_fma_f16 v0, v91, s7, v90
	;; [unrolled: 2-line block ×3, first 2 shown]
	v_fma_f16 v0, v92, s5, v0
	v_fma_f16 v1, v89, s8, v1
	;; [unrolled: 1-line block ×3, first 2 shown]
	v_mul_f16_e32 v2, 0x38b4, v1
	v_fma_f16 v96, v0, s14, v2
	v_mul_f16_e32 v0, 0xb8b4, v0
	v_fma_f16 v97, v1, s14, v0
	ds_read2_b32 v[0:1], v21 offset1:90
	v_mul_u32_u24_e32 v2, 0x78, v37
	v_mov_b32_e32 v37, 2
	v_lshlrev_b32_sdwa v3, v37, v51 dst_sel:DWORD dst_unused:UNUSED_PAD src0_sel:DWORD src1_sel:BYTE_0
	v_add3_u32 v51, 0, v2, v3
	s_waitcnt lgkmcnt(0)
	v_add_f16_e32 v2, v0, v63
	v_add_f16_e32 v2, v2, v69
	;; [unrolled: 1-line block ×3, first 2 shown]
	v_lshrrev_b32_e32 v99, 16, v0
	v_add_f16_e32 v98, v2, v19
	v_add_f16_e32 v2, v99, v56
	v_add_f16_e32 v2, v2, v68
	v_add_f16_e32 v2, v2, v72
	v_add_f16_e32 v100, v2, v73
	v_add_f16_e32 v2, v53, v67
	v_add_f16_e32 v2, v2, v71
	v_add_f16_e32 v2, v2, v16
	v_add_f16_e32 v101, v2, v85
	v_add_f16_e32 v2, v52, v66
	v_add_f16_e32 v2, v2, v70
	v_add_f16_e32 v2, v2, v17
	v_add_f16_e32 v102, v2, v75
	v_add_f16_e32 v2, v98, v101
	v_add_f16_e32 v3, v100, v102
	v_pack_b32_f16 v103, v2, v3
	v_add_f16_e32 v2, v69, v74
	v_sub_f16_e32 v109, v63, v19
	v_sub_f16_e32 v110, v69, v74
	;; [unrolled: 1-line block ×3, first 2 shown]
	v_add_f16_e32 v63, v63, v19
	v_fma_f16 v104, v2, -0.5, v0
	v_sub_f16_e32 v106, v68, v72
	v_fma_f16 v0, v63, -0.5, v0
	v_sub_f16_e32 v105, v56, v73
	v_sub_f16_e32 v19, v74, v19
	v_fma_f16 v63, v106, s9, v0
	v_fma_f16 v0, v106, s7, v0
	;; [unrolled: 1-line block ×3, first 2 shown]
	v_add_f16_e32 v19, v69, v19
	v_fma_f16 v63, v105, s5, v63
	v_fma_f16 v0, v105, s6, v0
	;; [unrolled: 1-line block ×5, first 2 shown]
	v_add_f16_e32 v19, v56, v73
	v_fma_f16 v107, v86, s8, v2
	v_add_f16_e32 v2, v68, v72
	v_fma_f16 v19, v19, -0.5, v99
	v_sub_f16_e32 v56, v68, v56
	v_sub_f16_e32 v68, v72, v73
	v_add_f16_e32 v56, v56, v68
	v_fma_f16 v68, v110, s7, v19
	v_fma_f16 v19, v110, s9, v19
	v_fma_f16 v68, v109, s6, v68
	v_fma_f16 v19, v109, s5, v19
	v_fma_f16 v68, v56, s8, v68
	v_fma_f16 v19, v56, s8, v19
	v_add_f16_e32 v56, v67, v85
	v_fma_f16 v53, v56, -0.5, v53
	v_sub_f16_e32 v56, v71, v67
	v_sub_f16_e32 v16, v16, v85
	v_add_f16_e32 v16, v56, v16
	v_fma_f16 v56, v92, s9, v53
	v_fma_f16 v53, v92, s7, v53
	v_fma_f16 v56, v91, s5, v56
	v_fma_f16 v53, v91, s6, v53
	v_fma_f16 v56, v16, s8, v56
	;; [unrolled: 11-line block ×3, first 2 shown]
	v_fma_f16 v17, v17, s8, v52
	v_mul_f16_e32 v52, 0x3b9c, v53
	v_fma_f16 v52, v56, s8, v52
	v_mul_f16_e32 v56, 0xbb9c, v56
	;; [unrolled: 2-line block ×3, first 2 shown]
	v_fma_f16 v56, v17, s7, -v56
	v_mul_f16_e32 v17, 0x34f2, v17
	v_fma_f16 v108, v2, -0.5, v99
	v_fma_f16 v16, v16, s9, -v17
	v_add_f16_e32 v17, v63, v52
	v_add_f16_e32 v66, v68, v53
	v_fma_f16 v2, v109, s9, v108
	v_pack_b32_f16 v17, v17, v66
	v_add_f16_e32 v66, v0, v56
	v_add_f16_e32 v67, v19, v16
	v_fma_f16 v2, v110, s6, v2
	v_pack_b32_f16 v66, v66, v67
	v_fma_f16 v67, v91, s9, v90
	v_fma_f16 v111, v87, s8, v2
	;; [unrolled: 1-line block ×4, first 2 shown]
	v_add_f16_e32 v2, v107, v96
	v_add_f16_e32 v3, v111, v97
	v_fma_f16 v67, v88, s8, v67
	v_fma_f16 v69, v95, s5, v69
	v_pack_b32_f16 v112, v2, v3
	ds_read2_b32 v[2:3], v25 offset0:88 offset1:178
	s_waitcnt vmcnt(0) lgkmcnt(0)
	s_barrier
	ds_write2_b32 v51, v17, v66 offset0:6 offset1:9
	v_fma_f16 v17, v105, s9, v104
	v_fma_f16 v66, v109, s7, v108
	;; [unrolled: 1-line block ×3, first 2 shown]
	v_mul_f16_e32 v70, 0x3a79, v67
	v_fma_f16 v17, v106, s6, v17
	v_fma_f16 v66, v110, s5, v66
	v_fma_f16 v70, v69, s5, -v70
	v_mul_f16_e32 v69, 0x3a79, v69
	v_fma_f16 v17, v86, s8, v17
	v_fma_f16 v66, v87, s8, v66
	v_fma_f16 v67, v67, s6, -v69
	v_sub_f16_e32 v69, v98, v101
	v_sub_f16_e32 v71, v100, v102
	v_add_f16_e32 v72, v17, v70
	v_add_f16_e32 v73, v66, v67
	v_pack_b32_f16 v72, v72, v73
	v_pack_b32_f16 v69, v69, v71
	v_sub_f16_e32 v0, v0, v56
	v_sub_f16_e32 v17, v17, v70
	;; [unrolled: 1-line block ×4, first 2 shown]
	ds_write2_b32 v51, v72, v69 offset0:12 offset1:15
	v_sub_f16_e32 v69, v107, v96
	v_sub_f16_e32 v52, v63, v52
	;; [unrolled: 1-line block ×4, first 2 shown]
	v_pack_b32_f16 v0, v0, v16
	v_pack_b32_f16 v16, v17, v19
	;; [unrolled: 1-line block ×4, first 2 shown]
	ds_write2_b32 v51, v0, v16 offset0:24 offset1:27
	v_lshrrev_b32_e32 v0, 16, v2
	v_mul_f16_sdwa v16, v2, v65 dst_sel:DWORD dst_unused:UNUSED_PAD src0_sel:DWORD src1_sel:WORD_1
	ds_write2_b32 v51, v103, v112 offset1:3
	ds_write2_b32 v51, v63, v52 offset0:18 offset1:21
	v_fma_f16 v16, v0, v65, v16
	v_mul_f16_sdwa v0, v0, v65 dst_sel:DWORD dst_unused:UNUSED_PAD src0_sel:DWORD src1_sel:WORD_1
	v_sub_f16_e32 v51, v62, v64
	v_sub_f16_e32 v52, v81, v80
	v_fma_f16 v0, v2, v65, -v0
	v_add_f16_e32 v51, v51, v52
	v_sub_f16_e32 v52, v57, v60
	v_sub_f16_e32 v53, v20, v18
	v_add_f16_e32 v52, v52, v53
	v_sub_f16_e32 v53, v61, v76
	v_sub_f16_e32 v56, v0, v78
	;; [unrolled: 3-line block ×3, first 2 shown]
	v_add_f16_e32 v68, v82, v83
	v_add_f16_e32 v56, v56, v63
	;; [unrolled: 1-line block ×3, first 2 shown]
	v_fma_f16 v68, v68, -0.5, v54
	v_sub_f16_e32 v69, v61, v0
	v_fma_f16 v63, v63, -0.5, v59
	v_sub_f16_e32 v65, v55, v16
	v_fma_f16 v70, v69, s9, v68
	v_sub_f16_e32 v71, v76, v78
	v_fma_f16 v66, v65, s7, v63
	v_sub_f16_e32 v67, v82, v83
	v_fma_f16 v70, v71, s6, v70
	v_fma_f16 v66, v67, s5, v66
	v_fma_f16 v70, v56, s8, v70
	;; [unrolled: 1-line block ×3, first 2 shown]
	v_mul_f16_e32 v72, 0x38b4, v70
	v_add_f16_e32 v2, v64, v80
	v_add_f16_e32 v17, v62, v81
	v_lshrrev_b32_e32 v19, 16, v1
	v_fma_f16 v72, v66, s14, v72
	v_mul_f16_e32 v66, 0xb8b4, v66
	v_lshlrev_b32_sdwa v42, v37, v42 dst_sel:DWORD dst_unused:UNUSED_PAD src0_sel:DWORD src1_sel:BYTE_0
	v_fma_f16 v2, v2, -0.5, v1
	v_fma_f16 v17, v17, -0.5, v1
	v_add_f16_e32 v1, v1, v62
	v_fma_f16 v66, v70, s14, v66
	v_add3_u32 v41, 0, v41, v42
	v_add_f16_e32 v42, v19, v57
	v_add_f16_e32 v70, v59, v61
	;; [unrolled: 1-line block ×17, first 2 shown]
	v_sub_f16_e32 v86, v60, v18
	v_sub_f16_e32 v88, v62, v81
	;; [unrolled: 1-line block ×5, first 2 shown]
	v_pack_b32_f16 v74, v74, v75
	v_sub_f16_e32 v75, v57, v20
	v_add_f16_e32 v62, v62, v64
	v_fma_f16 v64, v86, s9, v17
	v_fma_f16 v17, v86, s7, v17
	;; [unrolled: 1-line block ×4, first 2 shown]
	v_add_f16_e32 v87, v60, v18
	v_fma_f16 v64, v62, s8, v64
	v_fma_f16 v17, v62, s8, v17
	v_add_f16_e32 v62, v57, v20
	v_fma_f16 v87, v87, -0.5, v19
	v_fma_f16 v19, v62, -0.5, v19
	v_sub_f16_e32 v57, v60, v57
	v_sub_f16_e32 v18, v18, v20
	v_fma_f16 v20, v90, s7, v19
	v_fma_f16 v19, v90, s9, v19
	v_add_f16_e32 v18, v57, v18
	v_fma_f16 v20, v88, s6, v20
	v_fma_f16 v19, v88, s5, v19
	;; [unrolled: 1-line block ×4, first 2 shown]
	v_add_f16_e32 v19, v61, v0
	v_fma_f16 v19, v19, -0.5, v59
	v_sub_f16_e32 v57, v76, v61
	v_sub_f16_e32 v0, v78, v0
	v_add_f16_e32 v0, v57, v0
	v_fma_f16 v57, v67, s9, v19
	v_fma_f16 v19, v67, s7, v19
	;; [unrolled: 1-line block ×6, first 2 shown]
	v_add_f16_e32 v19, v55, v16
	v_fma_f16 v19, v19, -0.5, v54
	v_sub_f16_e32 v54, v82, v55
	v_sub_f16_e32 v16, v83, v16
	v_add_f16_e32 v16, v54, v16
	v_fma_f16 v54, v71, s7, v19
	v_fma_f16 v54, v69, s6, v54
	;; [unrolled: 1-line block ×5, first 2 shown]
	v_mul_f16_e32 v55, 0xbb9c, v57
	v_fma_f16 v16, v16, s8, v19
	v_mul_f16_e32 v19, 0x3b9c, v54
	v_fma_f16 v54, v54, s8, v55
	;; [unrolled: 2-line block ×3, first 2 shown]
	v_fma_f16 v55, v16, s7, -v55
	v_mul_f16_e32 v16, 0x34f2, v16
	v_fma_f16 v0, v0, s9, -v16
	v_add_f16_e32 v16, v64, v19
	v_add_f16_e32 v57, v20, v54
	v_pack_b32_f16 v16, v16, v57
	v_add_f16_e32 v57, v17, v55
	v_add_f16_e32 v59, v18, v0
	v_fma_f16 v85, v75, s7, v2
	v_pack_b32_f16 v57, v57, v59
	v_fma_f16 v2, v75, s9, v2
	v_fma_f16 v85, v86, s5, v85
	;; [unrolled: 1-line block ×3, first 2 shown]
	ds_write2_b32 v41, v16, v57 offset0:6 offset1:9
	v_fma_f16 v2, v86, s6, v2
	v_fma_f16 v16, v88, s7, v87
	;; [unrolled: 1-line block ×14, first 2 shown]
	v_mul_f16_e32 v53, 0x3a79, v51
	v_fma_f16 v53, v52, s5, -v53
	v_mul_f16_e32 v52, 0x3a79, v52
	v_fma_f16 v51, v51, s6, -v52
	v_sub_f16_e32 v1, v1, v70
	v_sub_f16_e32 v42, v42, v73
	v_add_f16_e32 v52, v2, v53
	v_add_f16_e32 v56, v16, v51
	v_pack_b32_f16 v52, v52, v56
	v_pack_b32_f16 v1, v1, v42
	ds_write2_b32 v41, v52, v1 offset0:12 offset1:15
	v_sub_f16_e32 v1, v85, v72
	v_sub_f16_e32 v19, v64, v19
	;; [unrolled: 1-line block ×4, first 2 shown]
	v_pack_b32_f16 v1, v1, v42
	v_pack_b32_f16 v19, v19, v20
	ds_write2_b32 v41, v1, v19 offset0:18 offset1:21
	v_sub_f16_e32 v1, v17, v55
	v_sub_f16_e32 v2, v2, v53
	;; [unrolled: 1-line block ×4, first 2 shown]
	v_pack_b32_f16 v0, v1, v0
	v_pack_b32_f16 v1, v2, v16
	ds_write2_b32 v41, v0, v1 offset0:24 offset1:27
	v_lshrrev_b32_e32 v0, 16, v3
	v_mul_f16_sdwa v1, v0, v58 dst_sel:DWORD dst_unused:UNUSED_PAD src0_sel:DWORD src1_sel:WORD_1
	v_sub_f16_e32 v17, v48, v50
	v_sub_f16_e32 v18, v7, v77
	v_add_f16_e32 v91, v85, v72
	v_add_f16_e32 v92, v89, v66
	v_fma_f16 v1, v3, v58, -v1
	v_mul_f16_sdwa v2, v3, v58 dst_sel:DWORD dst_unused:UNUSED_PAD src0_sel:DWORD src1_sel:WORD_1
	v_add_f16_e32 v17, v17, v18
	v_sub_f16_e32 v18, v47, v49
	v_sub_f16_e32 v19, v79, v5
	v_pack_b32_f16 v91, v91, v92
	v_fma_f16 v0, v0, v58, v2
	v_add_f16_e32 v18, v18, v19
	v_sub_f16_e32 v19, v46, v84
	v_sub_f16_e32 v20, v1, v15
	ds_write2_b32 v41, v74, v91 offset1:3
	v_add_f16_e32 v19, v19, v20
	v_sub_f16_e32 v20, v45, v4
	v_sub_f16_e32 v41, v0, v6
	v_add_f16_e32 v53, v4, v6
	v_add_f16_e32 v20, v20, v41
	;; [unrolled: 1-line block ×3, first 2 shown]
	v_fma_f16 v53, v53, -0.5, v43
	v_sub_f16_e32 v54, v46, v1
	v_fma_f16 v41, v41, -0.5, v44
	v_sub_f16_e32 v42, v45, v0
	v_fma_f16 v55, v54, s9, v53
	v_sub_f16_e32 v56, v84, v15
	v_fma_f16 v51, v42, s7, v41
	;; [unrolled: 2-line block ×3, first 2 shown]
	v_fma_f16 v51, v52, s5, v51
	v_fma_f16 v55, v20, s8, v55
	;; [unrolled: 1-line block ×3, first 2 shown]
	v_mul_f16_e32 v57, 0x38b4, v55
	v_add_f16_e32 v2, v50, v77
	v_add_f16_e32 v3, v48, v7
	v_lshrrev_b32_e32 v16, 16, v14
	v_fma_f16 v57, v51, s14, v57
	v_mul_f16_e32 v51, 0xb8b4, v51
	v_fma_f16 v2, v2, -0.5, v14
	v_fma_f16 v3, v3, -0.5, v14
	v_add_f16_e32 v14, v14, v48
	v_fma_f16 v51, v55, s14, v51
	v_add_f16_e32 v40, v16, v47
	v_add_f16_e32 v55, v44, v46
	v_add_f16_e32 v58, v43, v45
	v_add_f16_e32 v14, v14, v50
	v_add_f16_e32 v40, v40, v49
	v_add_f16_e32 v55, v55, v84
	v_add_f16_e32 v58, v58, v4
	v_add_f16_e32 v14, v14, v77
	v_add_f16_e32 v40, v40, v5
	v_add_f16_e32 v55, v55, v15
	v_add_f16_e32 v58, v58, v6
	v_add_f16_e32 v14, v14, v7
	v_add_f16_e32 v40, v40, v79
	v_add_f16_e32 v55, v55, v1
	v_add_f16_e32 v58, v58, v0
	v_add_f16_e32 v59, v14, v55
	v_add_f16_e32 v60, v40, v58
	v_sub_f16_e32 v62, v49, v5
	v_sub_f16_e32 v64, v48, v7
	;; [unrolled: 1-line block ×4, first 2 shown]
	v_pack_b32_f16 v59, v59, v60
	v_sub_f16_e32 v60, v47, v79
	v_add_f16_e32 v7, v48, v7
	v_fma_f16 v48, v62, s9, v3
	v_fma_f16 v3, v62, s7, v3
	;; [unrolled: 1-line block ×4, first 2 shown]
	v_add_f16_e32 v63, v49, v5
	v_fma_f16 v48, v7, s8, v48
	v_fma_f16 v3, v7, s8, v3
	v_add_f16_e32 v7, v47, v79
	v_fma_f16 v63, v63, -0.5, v16
	v_sub_f16_e32 v66, v50, v77
	v_fma_f16 v7, v7, -0.5, v16
	v_sub_f16_e32 v16, v49, v47
	v_sub_f16_e32 v5, v5, v79
	v_add_f16_e32 v5, v16, v5
	v_fma_f16 v16, v66, s7, v7
	v_fma_f16 v7, v66, s9, v7
	;; [unrolled: 1-line block ×6, first 2 shown]
	v_add_f16_e32 v7, v46, v1
	v_fma_f16 v7, v7, -0.5, v44
	v_sub_f16_e32 v44, v84, v46
	v_sub_f16_e32 v1, v15, v1
	v_fma_f16 v15, v52, s9, v7
	v_fma_f16 v7, v52, s7, v7
	v_add_f16_e32 v1, v44, v1
	v_fma_f16 v15, v42, s5, v15
	v_fma_f16 v7, v42, s6, v7
	;; [unrolled: 1-line block ×4, first 2 shown]
	v_add_f16_e32 v7, v45, v0
	v_fma_f16 v7, v7, -0.5, v43
	v_sub_f16_e32 v4, v4, v45
	v_sub_f16_e32 v0, v6, v0
	v_add_f16_e32 v0, v4, v0
	v_fma_f16 v4, v56, s7, v7
	v_fma_f16 v4, v54, s6, v4
	v_fma_f16 v6, v56, s9, v7
	v_fma_f16 v4, v0, s8, v4
	v_fma_f16 v6, v54, s5, v6
	v_mul_f16_e32 v7, 0xbb9c, v15
	v_fma_f16 v0, v0, s8, v6
	v_mul_f16_e32 v6, 0x3b9c, v4
	v_fma_f16 v4, v4, s8, v7
	v_mul_f16_e32 v7, 0x34f2, v1
	v_fma_f16 v6, v15, s8, v6
	v_fma_f16 v7, v0, s7, -v7
	v_mul_f16_e32 v0, 0x34f2, v0
	v_fma_f16 v0, v1, s9, -v0
	v_add_f16_e32 v1, v48, v6
	v_add_f16_e32 v15, v16, v4
	v_pack_b32_f16 v1, v1, v15
	v_add_f16_e32 v15, v3, v7
	v_add_f16_e32 v43, v5, v0
	v_pack_b32_f16 v15, v15, v43
	v_fma_f16 v61, v60, s7, v2
	ds_write2_b32 v39, v1, v15 offset0:6 offset1:9
	v_fma_f16 v1, v60, s9, v2
	v_fma_f16 v61, v62, s5, v61
	;; [unrolled: 1-line block ×17, first 2 shown]
	v_mul_f16_e32 v18, 0x3a79, v15
	v_fma_f16 v18, v17, s5, -v18
	v_mul_f16_e32 v17, 0x3a79, v17
	v_fma_f16 v15, v15, s6, -v17
	v_add_f16_e32 v19, v1, v18
	v_add_f16_e32 v20, v2, v15
	v_sub_f16_e32 v3, v3, v7
	v_sub_f16_e32 v1, v1, v18
	;; [unrolled: 1-line block ×4, first 2 shown]
	v_pack_b32_f16 v0, v3, v0
	v_pack_b32_f16 v1, v1, v2
	ds_write2_b32 v39, v0, v1 offset0:24 offset1:27
	v_mul_lo_u16_sdwa v0, v10, s15 dst_sel:DWORD dst_unused:UNUSED_PAD src0_sel:BYTE_0 src1_sel:DWORD
	v_lshrrev_b16_e32 v50, 12, v0
	v_sub_f16_e32 v14, v14, v55
	v_sub_f16_e32 v17, v40, v58
	v_mul_lo_u16_e32 v0, 30, v50
	v_add_f16_e32 v68, v65, v51
	v_pack_b32_f16 v19, v19, v20
	v_pack_b32_f16 v14, v14, v17
	v_sub_f16_e32 v7, v65, v51
	v_sub_u16_e32 v51, v10, v0
	v_add_f16_e32 v67, v61, v57
	ds_write2_b32 v39, v19, v14 offset0:12 offset1:15
	v_sub_f16_e32 v14, v61, v57
	v_sub_f16_e32 v6, v48, v6
	;; [unrolled: 1-line block ×3, first 2 shown]
	v_mul_u32_u24_sdwa v0, v51, v38 dst_sel:DWORD dst_unused:UNUSED_PAD src0_sel:BYTE_0 src1_sel:DWORD
	v_pack_b32_f16 v67, v67, v68
	v_pack_b32_f16 v5, v14, v7
	v_pack_b32_f16 v4, v6, v4
	v_lshlrev_b32_e32 v20, 2, v0
	ds_write2_b32 v39, v59, v67 offset1:3
	ds_write2_b32 v39, v5, v4 offset0:18 offset1:21
	s_waitcnt lgkmcnt(0)
	s_barrier
	global_load_dwordx4 v[2:5], v20, s[12:13] offset:108
	v_mul_lo_u16_sdwa v0, v35, s15 dst_sel:DWORD dst_unused:UNUSED_PAD src0_sel:BYTE_0 src1_sel:DWORD
	v_lshrrev_b16_e32 v40, 12, v0
	v_mul_lo_u16_e32 v0, 30, v40
	v_sub_u16_e32 v41, v35, v0
	v_mul_u32_u24_sdwa v0, v41, v38 dst_sel:DWORD dst_unused:UNUSED_PAD src0_sel:BYTE_0 src1_sel:DWORD
	v_lshlrev_b32_e32 v65, 2, v0
	global_load_dwordx4 v[16:19], v65, s[12:13] offset:108
	s_mov_b32 s15, 0x8889
	v_mul_u32_u24_sdwa v0, v36, s15 dst_sel:DWORD dst_unused:UNUSED_PAD src0_sel:WORD_0 src1_sel:DWORD
	v_lshrrev_b32_e32 v38, 20, v0
	v_mul_lo_u16_e32 v0, 30, v38
	v_sub_u16_e32 v39, v36, v0
	v_mul_u32_u24_e32 v0, 9, v39
	v_lshlrev_b32_e32 v59, 2, v0
	global_load_dwordx4 v[70:73], v59, s[12:13] offset:108
	global_load_dwordx4 v[76:79], v20, s[12:13] offset:124
	ds_read2_b32 v[14:15], v34 offset0:52 offset1:142
	ds_read2_b32 v[6:7], v28 offset0:28 offset1:118
	;; [unrolled: 1-line block ×4, first 2 shown]
	global_load_dword v75, v20, s[12:13] offset:140
	s_waitcnt lgkmcnt(3)
	v_lshrrev_b32_e32 v0, 16, v15
	v_mul_u32_u24_e32 v40, 0x4b0, v40
	v_mul_u32_u24_e32 v38, 0x4b0, v38
	v_lshlrev_b32_e32 v39, 2, v39
	v_add3_u32 v38, 0, v38, v39
	s_waitcnt vmcnt(4)
	v_mul_f16_sdwa v1, v2, v15 dst_sel:DWORD dst_unused:UNUSED_PAD src0_sel:WORD_1 src1_sel:DWORD
	v_fma_f16 v52, v2, v0, v1
	v_mul_f16_sdwa v0, v2, v0 dst_sel:DWORD dst_unused:UNUSED_PAD src0_sel:WORD_1 src1_sel:DWORD
	v_fma_f16 v53, v2, v15, -v0
	s_waitcnt lgkmcnt(2)
	v_lshrrev_b32_e32 v0, 16, v6
	v_mul_f16_sdwa v1, v3, v6 dst_sel:DWORD dst_unused:UNUSED_PAD src0_sel:WORD_1 src1_sel:DWORD
	v_fma_f16 v56, v3, v0, v1
	v_mul_f16_sdwa v0, v3, v0 dst_sel:DWORD dst_unused:UNUSED_PAD src0_sel:WORD_1 src1_sel:DWORD
	v_fma_f16 v63, v3, v6, -v0
	global_load_dwordx4 v[0:3], v65, s[12:13] offset:124
	s_waitcnt lgkmcnt(1)
	v_lshrrev_b32_e32 v6, 16, v45
	v_mul_f16_sdwa v15, v4, v45 dst_sel:DWORD dst_unused:UNUSED_PAD src0_sel:WORD_1 src1_sel:DWORD
	v_fma_f16 v66, v4, v6, v15
	v_mul_f16_sdwa v6, v4, v6 dst_sel:DWORD dst_unused:UNUSED_PAD src0_sel:WORD_1 src1_sel:DWORD
	v_fma_f16 v67, v4, v45, -v6
	s_waitcnt lgkmcnt(0)
	v_lshrrev_b32_e32 v4, 16, v42
	v_mul_f16_sdwa v6, v42, v5 dst_sel:DWORD dst_unused:UNUSED_PAD src0_sel:DWORD src1_sel:WORD_1
	v_fma_f16 v68, v4, v5, v6
	v_mul_f16_sdwa v4, v4, v5 dst_sel:DWORD dst_unused:UNUSED_PAD src0_sel:DWORD src1_sel:WORD_1
	v_fma_f16 v69, v42, v5, -v4
	v_lshrrev_b32_e32 v4, 16, v7
	s_waitcnt vmcnt(4)
	v_mul_f16_sdwa v5, v4, v17 dst_sel:DWORD dst_unused:UNUSED_PAD src0_sel:DWORD src1_sel:WORD_1
	v_fma_f16 v62, v7, v17, -v5
	v_mul_f16_sdwa v5, v7, v17 dst_sel:DWORD dst_unused:UNUSED_PAD src0_sel:DWORD src1_sel:WORD_1
	v_fma_f16 v57, v4, v17, v5
	v_lshrrev_b32_e32 v4, 16, v43
	v_mul_f16_sdwa v5, v4, v19 dst_sel:DWORD dst_unused:UNUSED_PAD src0_sel:DWORD src1_sel:WORD_1
	v_fma_f16 v64, v43, v19, -v5
	v_mul_f16_sdwa v5, v43, v19 dst_sel:DWORD dst_unused:UNUSED_PAD src0_sel:DWORD src1_sel:WORD_1
	v_fma_f16 v60, v4, v19, v5
	global_load_dwordx4 v[4:7], v59, s[12:13] offset:124
	ds_read2_b32 v[45:46], v31 offset0:104 offset1:194
	global_load_dword v59, v59, s[12:13] offset:140
	ds_read2_b32 v[19:20], v33 offset0:132 offset1:222
	global_load_dword v65, v65, s[12:13] offset:140
	s_waitcnt lgkmcnt(1)
	v_lshrrev_b32_e32 v15, 16, v45
	v_mul_f16_sdwa v17, v45, v16 dst_sel:DWORD dst_unused:UNUSED_PAD src0_sel:DWORD src1_sel:WORD_1
	v_fma_f16 v54, v15, v16, v17
	v_mul_f16_sdwa v15, v15, v16 dst_sel:DWORD dst_unused:UNUSED_PAD src0_sel:DWORD src1_sel:WORD_1
	v_fma_f16 v58, v45, v16, -v15
	s_waitcnt lgkmcnt(0)
	v_lshrrev_b32_e32 v15, 16, v19
	v_mul_f16_sdwa v16, v19, v18 dst_sel:DWORD dst_unused:UNUSED_PAD src0_sel:DWORD src1_sel:WORD_1
	v_fma_f16 v55, v15, v18, v16
	v_mul_f16_sdwa v15, v15, v18 dst_sel:DWORD dst_unused:UNUSED_PAD src0_sel:DWORD src1_sel:WORD_1
	v_fma_f16 v61, v19, v18, -v15
	v_lshrrev_b32_e32 v15, 16, v46
	s_waitcnt vmcnt(6)
	v_mul_f16_sdwa v16, v15, v70 dst_sel:DWORD dst_unused:UNUSED_PAD src0_sel:DWORD src1_sel:WORD_1
	v_fma_f16 v43, v46, v70, -v16
	v_mul_f16_sdwa v16, v46, v70 dst_sel:DWORD dst_unused:UNUSED_PAD src0_sel:DWORD src1_sel:WORD_1
	v_fma_f16 v42, v15, v70, v16
	v_lshrrev_b32_e32 v15, 16, v44
	v_mul_f16_sdwa v16, v15, v71 dst_sel:DWORD dst_unused:UNUSED_PAD src0_sel:DWORD src1_sel:WORD_1
	v_fma_f16 v47, v44, v71, -v16
	v_mul_f16_sdwa v16, v44, v71 dst_sel:DWORD dst_unused:UNUSED_PAD src0_sel:DWORD src1_sel:WORD_1
	v_fma_f16 v46, v15, v71, v16
	ds_read2_b32 v[15:16], v27 offset0:108 offset1:198
	v_lshrrev_b32_e32 v17, 16, v20
	v_mul_f16_sdwa v18, v17, v72 dst_sel:DWORD dst_unused:UNUSED_PAD src0_sel:DWORD src1_sel:WORD_1
	v_fma_f16 v45, v20, v72, -v18
	v_mul_f16_sdwa v18, v20, v72 dst_sel:DWORD dst_unused:UNUSED_PAD src0_sel:DWORD src1_sel:WORD_1
	v_fma_f16 v44, v17, v72, v18
	s_waitcnt lgkmcnt(0)
	v_lshrrev_b32_e32 v17, 16, v15
	v_mul_f16_sdwa v18, v15, v73 dst_sel:DWORD dst_unused:UNUSED_PAD src0_sel:DWORD src1_sel:WORD_1
	v_fma_f16 v48, v17, v73, v18
	v_mul_f16_sdwa v17, v17, v73 dst_sel:DWORD dst_unused:UNUSED_PAD src0_sel:DWORD src1_sel:WORD_1
	v_fma_f16 v49, v15, v73, -v17
	ds_read2_b32 v[17:18], v24 offset0:84 offset1:174
	v_lshrrev_b32_e32 v15, 16, v16
	s_waitcnt vmcnt(5)
	v_mul_f16_sdwa v19, v15, v76 dst_sel:DWORD dst_unused:UNUSED_PAD src0_sel:DWORD src1_sel:WORD_1
	v_fma_f16 v71, v16, v76, -v19
	v_mul_f16_sdwa v16, v16, v76 dst_sel:DWORD dst_unused:UNUSED_PAD src0_sel:DWORD src1_sel:WORD_1
	v_fma_f16 v70, v15, v76, v16
	s_waitcnt lgkmcnt(0)
	v_lshrrev_b32_e32 v19, 16, v17
	ds_read2_b32 v[15:16], v32 offset0:8 offset1:98
	v_mul_f16_sdwa v20, v17, v77 dst_sel:DWORD dst_unused:UNUSED_PAD src0_sel:DWORD src1_sel:WORD_1
	v_fma_f16 v72, v19, v77, v20
	v_mul_f16_sdwa v19, v19, v77 dst_sel:DWORD dst_unused:UNUSED_PAD src0_sel:DWORD src1_sel:WORD_1
	v_fma_f16 v74, v17, v77, -v19
	ds_read2_b32 v[19:20], v26 offset0:112 offset1:202
	s_waitcnt lgkmcnt(1)
	v_lshrrev_b32_e32 v73, 16, v16
	v_mul_f16_sdwa v17, v16, v78 dst_sel:DWORD dst_unused:UNUSED_PAD src0_sel:DWORD src1_sel:WORD_1
	v_fma_f16 v17, v73, v78, v17
	v_mul_f16_sdwa v73, v73, v78 dst_sel:DWORD dst_unused:UNUSED_PAD src0_sel:DWORD src1_sel:WORD_1
	v_fma_f16 v16, v16, v78, -v73
	s_waitcnt lgkmcnt(0)
	v_lshrrev_b32_e32 v76, 16, v19
	v_mul_f16_sdwa v73, v19, v79 dst_sel:DWORD dst_unused:UNUSED_PAD src0_sel:DWORD src1_sel:WORD_1
	v_fma_f16 v73, v76, v79, v73
	v_mul_f16_sdwa v76, v76, v79 dst_sel:DWORD dst_unused:UNUSED_PAD src0_sel:DWORD src1_sel:WORD_1
	v_fma_f16 v19, v19, v79, -v76
	v_lshrrev_b32_e32 v76, 16, v18
	s_waitcnt vmcnt(3)
	v_mul_f16_sdwa v77, v76, v1 dst_sel:DWORD dst_unused:UNUSED_PAD src0_sel:DWORD src1_sel:WORD_1
	v_fma_f16 v80, v18, v1, -v77
	v_mul_f16_sdwa v18, v18, v1 dst_sel:DWORD dst_unused:UNUSED_PAD src0_sel:DWORD src1_sel:WORD_1
	v_fma_f16 v18, v76, v1, v18
	v_lshrrev_b32_e32 v1, 16, v20
	ds_read2_b32 v[76:77], v11 offset0:160 offset1:250
	v_mul_f16_sdwa v78, v1, v3 dst_sel:DWORD dst_unused:UNUSED_PAD src0_sel:DWORD src1_sel:WORD_1
	v_fma_f16 v81, v20, v3, -v78
	ds_read2_b32 v[78:79], v29 offset0:60 offset1:150
	v_mul_f16_sdwa v20, v20, v3 dst_sel:DWORD dst_unused:UNUSED_PAD src0_sel:DWORD src1_sel:WORD_1
	v_fma_f16 v20, v1, v3, v20
	s_waitcnt lgkmcnt(1)
	v_lshrrev_b32_e32 v1, 16, v76
	v_mul_f16_sdwa v3, v76, v0 dst_sel:DWORD dst_unused:UNUSED_PAD src0_sel:DWORD src1_sel:WORD_1
	v_fma_f16 v82, v1, v0, v3
	v_mul_f16_sdwa v1, v1, v0 dst_sel:DWORD dst_unused:UNUSED_PAD src0_sel:DWORD src1_sel:WORD_1
	v_fma_f16 v76, v76, v0, -v1
	s_waitcnt lgkmcnt(0)
	v_lshrrev_b32_e32 v0, 16, v78
	v_mul_f16_sdwa v1, v78, v2 dst_sel:DWORD dst_unused:UNUSED_PAD src0_sel:DWORD src1_sel:WORD_1
	v_fma_f16 v83, v0, v2, v1
	v_mul_f16_sdwa v0, v0, v2 dst_sel:DWORD dst_unused:UNUSED_PAD src0_sel:DWORD src1_sel:WORD_1
	v_fma_f16 v78, v78, v2, -v0
	v_lshrrev_b32_e32 v0, 16, v77
	s_waitcnt vmcnt(2)
	v_mul_f16_sdwa v1, v0, v4 dst_sel:DWORD dst_unused:UNUSED_PAD src0_sel:DWORD src1_sel:WORD_1
	v_fma_f16 v84, v77, v4, -v1
	v_mul_f16_sdwa v1, v77, v4 dst_sel:DWORD dst_unused:UNUSED_PAD src0_sel:DWORD src1_sel:WORD_1
	v_fma_f16 v4, v0, v4, v1
	v_lshrrev_b32_e32 v0, 16, v15
	v_mul_f16_sdwa v1, v0, v5 dst_sel:DWORD dst_unused:UNUSED_PAD src0_sel:DWORD src1_sel:WORD_1
	v_fma_f16 v77, v15, v5, -v1
	v_mul_f16_sdwa v1, v15, v5 dst_sel:DWORD dst_unused:UNUSED_PAD src0_sel:DWORD src1_sel:WORD_1
	v_fma_f16 v5, v0, v5, v1
	ds_read2_b32 v[0:1], v22 offset0:36 offset1:126
	v_lshrrev_b32_e32 v2, 16, v79
	v_mul_f16_sdwa v3, v2, v6 dst_sel:DWORD dst_unused:UNUSED_PAD src0_sel:DWORD src1_sel:WORD_1
	v_fma_f16 v15, v79, v6, -v3
	v_mul_f16_sdwa v3, v79, v6 dst_sel:DWORD dst_unused:UNUSED_PAD src0_sel:DWORD src1_sel:WORD_1
	v_fma_f16 v6, v2, v6, v3
	s_waitcnt lgkmcnt(0)
	v_lshrrev_b32_e32 v2, 16, v0
	v_mul_f16_sdwa v3, v0, v7 dst_sel:DWORD dst_unused:UNUSED_PAD src0_sel:DWORD src1_sel:WORD_1
	v_fma_f16 v79, v2, v7, v3
	v_mul_f16_sdwa v2, v2, v7 dst_sel:DWORD dst_unused:UNUSED_PAD src0_sel:DWORD src1_sel:WORD_1
	v_fma_f16 v7, v0, v7, -v2
	v_lshrrev_b32_e32 v0, 16, v1
	v_mul_f16_sdwa v2, v0, v75 dst_sel:DWORD dst_unused:UNUSED_PAD src0_sel:DWORD src1_sel:WORD_1
	v_fma_f16 v85, v1, v75, -v2
	v_mul_f16_sdwa v1, v1, v75 dst_sel:DWORD dst_unused:UNUSED_PAD src0_sel:DWORD src1_sel:WORD_1
	v_fma_f16 v75, v0, v75, v1
	v_sub_f16_e32 v0, v63, v69
	v_sub_f16_e32 v1, v19, v74
	v_add_f16_e32 v86, v0, v1
	v_sub_f16_e32 v0, v56, v68
	v_sub_f16_e32 v1, v73, v72
	v_add_f16_e32 v87, v0, v1
	;; [unrolled: 3-line block ×4, first 2 shown]
	v_add_f16_e32 v1, v70, v17
	v_add_f16_e32 v0, v71, v16
	v_fma_f16 v93, v1, -0.5, v52
	v_sub_f16_e32 v94, v67, v85
	v_fma_f16 v90, v0, -0.5, v53
	v_sub_f16_e32 v91, v66, v75
	v_fma_f16 v1, v94, s9, v93
	v_sub_f16_e32 v95, v71, v16
	v_fma_f16 v0, v91, s7, v90
	;; [unrolled: 2-line block ×3, first 2 shown]
	v_fma_f16 v0, v92, s5, v0
	v_fma_f16 v2, v89, s8, v1
	;; [unrolled: 1-line block ×3, first 2 shown]
	v_mul_f16_e32 v1, 0x38b4, v2
	v_fma_f16 v96, v0, s14, v1
	v_mul_f16_e32 v3, 0xb8b4, v0
	ds_read2_b32 v[0:1], v21 offset1:90
	v_fma_f16 v97, v2, s14, v3
	v_mul_u32_u24_e32 v2, 0x4b0, v50
	v_lshlrev_b32_sdwa v3, v37, v51 dst_sel:DWORD dst_unused:UNUSED_PAD src0_sel:DWORD src1_sel:BYTE_0
	v_add3_u32 v50, 0, v2, v3
	s_waitcnt lgkmcnt(0)
	v_add_f16_e32 v2, v0, v63
	v_add_f16_e32 v2, v2, v69
	;; [unrolled: 1-line block ×3, first 2 shown]
	v_lshrrev_b32_e32 v98, 16, v0
	v_add_f16_e32 v51, v2, v19
	v_add_f16_e32 v2, v98, v56
	;; [unrolled: 1-line block ×15, first 2 shown]
	v_pack_b32_f16 v102, v2, v3
	v_add_f16_e32 v2, v69, v74
	v_sub_f16_e32 v108, v63, v19
	v_sub_f16_e32 v109, v69, v74
	v_sub_f16_e32 v69, v69, v63
	v_add_f16_e32 v63, v63, v19
	v_fma_f16 v103, v2, -0.5, v0
	v_sub_f16_e32 v105, v68, v72
	v_fma_f16 v0, v63, -0.5, v0
	v_sub_f16_e32 v104, v56, v73
	v_sub_f16_e32 v19, v74, v19
	v_fma_f16 v63, v105, s9, v0
	v_fma_f16 v0, v105, s7, v0
	;; [unrolled: 1-line block ×3, first 2 shown]
	v_add_f16_e32 v19, v69, v19
	v_fma_f16 v63, v104, s5, v63
	v_fma_f16 v0, v104, s6, v0
	;; [unrolled: 1-line block ×5, first 2 shown]
	v_add_f16_e32 v19, v56, v73
	v_fma_f16 v106, v86, s8, v2
	v_add_f16_e32 v2, v68, v72
	v_fma_f16 v19, v19, -0.5, v98
	v_sub_f16_e32 v56, v68, v56
	v_sub_f16_e32 v68, v72, v73
	v_add_f16_e32 v56, v56, v68
	v_fma_f16 v68, v109, s7, v19
	v_fma_f16 v19, v109, s9, v19
	v_fma_f16 v68, v108, s6, v68
	v_fma_f16 v19, v108, s5, v19
	v_fma_f16 v68, v56, s8, v68
	v_fma_f16 v19, v56, s8, v19
	v_add_f16_e32 v56, v67, v85
	v_fma_f16 v53, v56, -0.5, v53
	v_sub_f16_e32 v56, v71, v67
	v_sub_f16_e32 v16, v16, v85
	v_add_f16_e32 v16, v56, v16
	v_fma_f16 v56, v92, s9, v53
	v_fma_f16 v53, v92, s7, v53
	v_fma_f16 v56, v91, s5, v56
	v_fma_f16 v53, v91, s6, v53
	v_fma_f16 v56, v16, s8, v56
	;; [unrolled: 11-line block ×3, first 2 shown]
	v_fma_f16 v17, v17, s8, v52
	v_mul_f16_e32 v52, 0x3b9c, v53
	v_fma_f16 v52, v56, s8, v52
	v_mul_f16_e32 v56, 0xbb9c, v56
	;; [unrolled: 2-line block ×3, first 2 shown]
	v_fma_f16 v56, v17, s7, -v56
	v_mul_f16_e32 v17, 0x34f2, v17
	v_fma_f16 v107, v2, -0.5, v98
	v_fma_f16 v16, v16, s9, -v17
	v_add_f16_e32 v17, v63, v52
	v_add_f16_e32 v66, v68, v53
	v_fma_f16 v2, v108, s9, v107
	v_pack_b32_f16 v17, v17, v66
	v_add_f16_e32 v66, v0, v56
	v_add_f16_e32 v67, v19, v16
	v_fma_f16 v2, v109, s6, v2
	v_pack_b32_f16 v66, v66, v67
	v_fma_f16 v67, v91, s9, v90
	v_fma_f16 v110, v87, s8, v2
	;; [unrolled: 1-line block ×4, first 2 shown]
	v_add_f16_e32 v2, v106, v96
	v_add_f16_e32 v3, v110, v97
	v_fma_f16 v67, v88, s8, v67
	v_fma_f16 v69, v95, s5, v69
	v_pack_b32_f16 v111, v2, v3
	ds_read2_b32 v[2:3], v25 offset0:88 offset1:178
	s_waitcnt vmcnt(0) lgkmcnt(0)
	s_barrier
	ds_write2_b32 v50, v17, v66 offset0:60 offset1:90
	v_fma_f16 v17, v104, s9, v103
	v_fma_f16 v66, v108, s7, v107
	;; [unrolled: 1-line block ×3, first 2 shown]
	v_mul_f16_e32 v70, 0x3a79, v67
	v_fma_f16 v17, v105, s6, v17
	v_fma_f16 v66, v109, s5, v66
	v_fma_f16 v70, v69, s5, -v70
	v_mul_f16_e32 v69, 0x3a79, v69
	v_fma_f16 v17, v86, s8, v17
	v_fma_f16 v66, v87, s8, v66
	v_fma_f16 v67, v67, s6, -v69
	v_sub_f16_e32 v51, v51, v100
	v_sub_f16_e32 v69, v99, v101
	v_add_f16_e32 v71, v17, v70
	v_add_f16_e32 v72, v66, v67
	v_pack_b32_f16 v71, v71, v72
	v_pack_b32_f16 v51, v51, v69
	v_sub_f16_e32 v0, v0, v56
	v_sub_f16_e32 v17, v17, v70
	v_sub_f16_e32 v16, v19, v16
	v_sub_f16_e32 v19, v66, v67
	ds_write2_b32 v50, v71, v51 offset0:120 offset1:150
	v_sub_f16_e32 v51, v106, v96
	v_sub_f16_e32 v52, v63, v52
	;; [unrolled: 1-line block ×4, first 2 shown]
	v_pack_b32_f16 v0, v0, v16
	v_pack_b32_f16 v16, v17, v19
	v_add_u32_e32 v17, 0x200, v50
	v_pack_b32_f16 v51, v51, v63
	v_pack_b32_f16 v52, v52, v53
	ds_write2_b32 v17, v0, v16 offset0:112 offset1:142
	v_lshrrev_b32_e32 v0, 16, v2
	v_mul_f16_sdwa v16, v2, v65 dst_sel:DWORD dst_unused:UNUSED_PAD src0_sel:DWORD src1_sel:WORD_1
	ds_write2_b32 v50, v102, v111 offset1:30
	ds_write2_b32 v50, v51, v52 offset0:180 offset1:210
	v_fma_f16 v16, v0, v65, v16
	v_mul_f16_sdwa v0, v0, v65 dst_sel:DWORD dst_unused:UNUSED_PAD src0_sel:DWORD src1_sel:WORD_1
	v_sub_f16_e32 v50, v62, v64
	v_sub_f16_e32 v51, v81, v80
	v_fma_f16 v0, v2, v65, -v0
	v_add_f16_e32 v50, v50, v51
	v_sub_f16_e32 v51, v57, v60
	v_sub_f16_e32 v52, v20, v18
	v_add_f16_e32 v51, v51, v52
	v_sub_f16_e32 v52, v61, v76
	v_sub_f16_e32 v53, v0, v78
	;; [unrolled: 3-line block ×3, first 2 shown]
	v_add_f16_e32 v67, v82, v83
	v_add_f16_e32 v53, v53, v56
	;; [unrolled: 1-line block ×3, first 2 shown]
	v_fma_f16 v67, v67, -0.5, v54
	v_sub_f16_e32 v68, v61, v0
	v_fma_f16 v56, v56, -0.5, v58
	v_sub_f16_e32 v63, v55, v16
	v_fma_f16 v69, v68, s9, v67
	v_sub_f16_e32 v70, v76, v78
	v_fma_f16 v65, v63, s7, v56
	;; [unrolled: 2-line block ×3, first 2 shown]
	v_fma_f16 v65, v66, s5, v65
	v_fma_f16 v69, v53, s8, v69
	;; [unrolled: 1-line block ×3, first 2 shown]
	v_mul_f16_e32 v71, 0x38b4, v69
	v_add_f16_e32 v2, v64, v80
	v_add_f16_e32 v17, v62, v81
	v_lshrrev_b32_e32 v19, 16, v1
	v_fma_f16 v71, v65, s14, v71
	v_mul_f16_e32 v65, 0xb8b4, v65
	v_lshlrev_b32_sdwa v37, v37, v41 dst_sel:DWORD dst_unused:UNUSED_PAD src0_sel:DWORD src1_sel:BYTE_0
	v_fma_f16 v2, v2, -0.5, v1
	v_fma_f16 v17, v17, -0.5, v1
	v_add_f16_e32 v1, v1, v62
	v_fma_f16 v65, v69, s14, v65
	v_add3_u32 v37, 0, v40, v37
	v_add_f16_e32 v40, v19, v57
	v_add_f16_e32 v41, v58, v61
	;; [unrolled: 1-line block ×17, first 2 shown]
	v_sub_f16_e32 v75, v60, v18
	v_sub_f16_e32 v86, v62, v81
	;; [unrolled: 1-line block ×5, first 2 shown]
	v_pack_b32_f16 v72, v72, v73
	v_sub_f16_e32 v73, v57, v20
	v_add_f16_e32 v62, v62, v64
	v_fma_f16 v64, v75, s9, v17
	v_fma_f16 v17, v75, s7, v17
	;; [unrolled: 1-line block ×4, first 2 shown]
	v_add_f16_e32 v85, v60, v18
	v_fma_f16 v64, v62, s8, v64
	v_fma_f16 v17, v62, s8, v17
	v_add_f16_e32 v62, v57, v20
	v_fma_f16 v85, v85, -0.5, v19
	v_fma_f16 v19, v62, -0.5, v19
	v_sub_f16_e32 v57, v60, v57
	v_sub_f16_e32 v18, v18, v20
	v_fma_f16 v20, v88, s7, v19
	v_fma_f16 v19, v88, s9, v19
	v_add_f16_e32 v18, v57, v18
	v_fma_f16 v20, v86, s6, v20
	v_fma_f16 v19, v86, s5, v19
	;; [unrolled: 1-line block ×4, first 2 shown]
	v_add_f16_e32 v19, v61, v0
	v_fma_f16 v19, v19, -0.5, v58
	v_sub_f16_e32 v57, v76, v61
	v_sub_f16_e32 v0, v78, v0
	v_add_f16_e32 v0, v57, v0
	v_fma_f16 v57, v66, s9, v19
	v_fma_f16 v19, v66, s7, v19
	;; [unrolled: 1-line block ×6, first 2 shown]
	v_add_f16_e32 v19, v55, v16
	v_fma_f16 v19, v19, -0.5, v54
	v_sub_f16_e32 v54, v82, v55
	v_sub_f16_e32 v16, v83, v16
	v_add_f16_e32 v16, v54, v16
	v_fma_f16 v54, v70, s7, v19
	v_fma_f16 v54, v68, s6, v54
	;; [unrolled: 1-line block ×5, first 2 shown]
	v_mul_f16_e32 v55, 0xbb9c, v57
	v_fma_f16 v16, v16, s8, v19
	v_mul_f16_e32 v19, 0x3b9c, v54
	v_fma_f16 v54, v54, s8, v55
	v_mul_f16_e32 v55, 0x34f2, v0
	v_fma_f16 v19, v57, s8, v19
	v_fma_f16 v55, v16, s7, -v55
	v_mul_f16_e32 v16, 0x34f2, v16
	v_fma_f16 v0, v0, s9, -v16
	v_add_f16_e32 v16, v64, v19
	v_add_f16_e32 v57, v20, v54
	v_pack_b32_f16 v16, v16, v57
	v_add_f16_e32 v57, v17, v55
	v_add_f16_e32 v58, v18, v0
	v_fma_f16 v74, v73, s7, v2
	v_pack_b32_f16 v57, v57, v58
	v_fma_f16 v2, v73, s9, v2
	v_fma_f16 v74, v75, s5, v74
	v_fma_f16 v87, v86, s9, v85
	ds_write2_b32 v37, v16, v57 offset0:60 offset1:90
	v_fma_f16 v2, v75, s6, v2
	v_fma_f16 v16, v86, s7, v85
	;; [unrolled: 1-line block ×14, first 2 shown]
	v_mul_f16_e32 v52, 0x3a79, v50
	v_fma_f16 v52, v51, s5, -v52
	v_mul_f16_e32 v51, 0x3a79, v51
	v_fma_f16 v50, v50, s6, -v51
	v_sub_f16_e32 v1, v1, v41
	v_sub_f16_e32 v40, v40, v69
	v_add_f16_e32 v41, v2, v52
	v_add_f16_e32 v51, v16, v50
	v_pack_b32_f16 v41, v41, v51
	v_pack_b32_f16 v1, v1, v40
	ds_write2_b32 v37, v41, v1 offset0:120 offset1:150
	v_sub_f16_e32 v1, v74, v71
	v_sub_f16_e32 v19, v64, v19
	;; [unrolled: 1-line block ×4, first 2 shown]
	v_pack_b32_f16 v1, v1, v40
	v_pack_b32_f16 v19, v19, v20
	ds_write2_b32 v37, v1, v19 offset0:180 offset1:210
	v_sub_f16_e32 v1, v17, v55
	v_sub_f16_e32 v2, v2, v52
	;; [unrolled: 1-line block ×4, first 2 shown]
	v_pack_b32_f16 v0, v1, v0
	v_pack_b32_f16 v1, v2, v16
	v_add_u32_e32 v2, 0x200, v37
	ds_write2_b32 v2, v0, v1 offset0:112 offset1:142
	v_lshrrev_b32_e32 v0, 16, v3
	v_mul_f16_sdwa v1, v0, v59 dst_sel:DWORD dst_unused:UNUSED_PAD src0_sel:DWORD src1_sel:WORD_1
	v_sub_f16_e32 v17, v47, v49
	v_sub_f16_e32 v18, v7, v77
	v_add_f16_e32 v89, v74, v71
	v_add_f16_e32 v90, v87, v65
	v_fma_f16 v1, v3, v59, -v1
	v_mul_f16_sdwa v2, v3, v59 dst_sel:DWORD dst_unused:UNUSED_PAD src0_sel:DWORD src1_sel:WORD_1
	v_add_f16_e32 v17, v17, v18
	v_sub_f16_e32 v18, v46, v48
	v_sub_f16_e32 v19, v79, v5
	v_pack_b32_f16 v89, v89, v90
	v_fma_f16 v0, v0, v59, v2
	v_add_f16_e32 v18, v18, v19
	v_sub_f16_e32 v19, v45, v84
	v_sub_f16_e32 v20, v1, v15
	ds_write2_b32 v37, v72, v89 offset1:30
	v_add_f16_e32 v19, v19, v20
	v_sub_f16_e32 v20, v44, v4
	v_sub_f16_e32 v37, v0, v6
	v_add_f16_e32 v51, v4, v6
	v_add_f16_e32 v20, v20, v37
	;; [unrolled: 1-line block ×3, first 2 shown]
	v_fma_f16 v51, v51, -0.5, v42
	v_sub_f16_e32 v52, v45, v1
	v_fma_f16 v37, v37, -0.5, v43
	v_sub_f16_e32 v40, v44, v0
	v_fma_f16 v53, v52, s9, v51
	v_sub_f16_e32 v54, v84, v15
	v_fma_f16 v41, v40, s7, v37
	;; [unrolled: 2-line block ×3, first 2 shown]
	v_fma_f16 v41, v50, s5, v41
	v_fma_f16 v53, v20, s8, v53
	;; [unrolled: 1-line block ×3, first 2 shown]
	v_mul_f16_e32 v55, 0x38b4, v53
	v_add_f16_e32 v2, v49, v77
	v_add_f16_e32 v3, v47, v7
	v_lshrrev_b32_e32 v16, 16, v14
	v_fma_f16 v55, v41, s14, v55
	v_mul_f16_e32 v41, 0xb8b4, v41
	v_fma_f16 v2, v2, -0.5, v14
	v_fma_f16 v3, v3, -0.5, v14
	v_add_f16_e32 v14, v14, v47
	v_fma_f16 v41, v53, s14, v41
	v_add_f16_e32 v39, v16, v46
	v_add_f16_e32 v53, v43, v45
	;; [unrolled: 1-line block ×17, first 2 shown]
	v_sub_f16_e32 v60, v48, v5
	v_sub_f16_e32 v62, v47, v7
	;; [unrolled: 1-line block ×4, first 2 shown]
	v_pack_b32_f16 v57, v57, v58
	v_sub_f16_e32 v58, v46, v79
	v_add_f16_e32 v7, v47, v7
	v_fma_f16 v47, v60, s9, v3
	v_fma_f16 v3, v60, s7, v3
	;; [unrolled: 1-line block ×4, first 2 shown]
	v_add_f16_e32 v61, v48, v5
	v_fma_f16 v47, v7, s8, v47
	v_fma_f16 v3, v7, s8, v3
	v_add_f16_e32 v7, v46, v79
	v_fma_f16 v61, v61, -0.5, v16
	v_sub_f16_e32 v64, v49, v77
	v_fma_f16 v7, v7, -0.5, v16
	v_sub_f16_e32 v16, v48, v46
	v_sub_f16_e32 v5, v5, v79
	v_add_f16_e32 v5, v16, v5
	v_fma_f16 v16, v64, s7, v7
	v_fma_f16 v7, v64, s9, v7
	;; [unrolled: 1-line block ×6, first 2 shown]
	v_add_f16_e32 v7, v45, v1
	v_fma_f16 v7, v7, -0.5, v43
	v_sub_f16_e32 v43, v84, v45
	v_sub_f16_e32 v1, v15, v1
	v_fma_f16 v15, v50, s9, v7
	v_fma_f16 v7, v50, s7, v7
	v_add_f16_e32 v1, v43, v1
	v_fma_f16 v15, v40, s5, v15
	v_fma_f16 v7, v40, s6, v7
	;; [unrolled: 1-line block ×4, first 2 shown]
	v_add_f16_e32 v7, v44, v0
	v_fma_f16 v7, v7, -0.5, v42
	v_sub_f16_e32 v4, v4, v44
	v_sub_f16_e32 v0, v6, v0
	v_add_f16_e32 v0, v4, v0
	v_fma_f16 v4, v54, s7, v7
	v_fma_f16 v4, v52, s6, v4
	;; [unrolled: 1-line block ×5, first 2 shown]
	v_mul_f16_e32 v7, 0xbb9c, v15
	v_fma_f16 v0, v0, s8, v6
	v_mul_f16_e32 v6, 0x3b9c, v4
	v_fma_f16 v4, v4, s8, v7
	;; [unrolled: 2-line block ×3, first 2 shown]
	v_fma_f16 v7, v0, s7, -v7
	v_mul_f16_e32 v0, 0x34f2, v0
	v_fma_f16 v0, v1, s9, -v0
	v_add_f16_e32 v1, v47, v6
	v_add_f16_e32 v15, v16, v4
	v_pack_b32_f16 v1, v1, v15
	v_add_f16_e32 v15, v3, v7
	v_add_f16_e32 v42, v5, v0
	v_pack_b32_f16 v15, v15, v42
	v_fma_f16 v59, v58, s7, v2
	ds_write2_b32 v38, v1, v15 offset0:60 offset1:90
	v_fma_f16 v1, v58, s9, v2
	v_fma_f16 v59, v60, s5, v59
	;; [unrolled: 1-line block ×17, first 2 shown]
	v_mul_f16_e32 v18, 0x3a79, v15
	v_fma_f16 v18, v17, s5, -v18
	v_mul_f16_e32 v17, 0x3a79, v17
	v_fma_f16 v15, v15, s6, -v17
	v_add_f16_e32 v19, v1, v18
	v_add_f16_e32 v20, v2, v15
	v_sub_f16_e32 v3, v3, v7
	v_sub_f16_e32 v1, v1, v18
	;; [unrolled: 1-line block ×4, first 2 shown]
	v_pack_b32_f16 v0, v3, v0
	v_pack_b32_f16 v1, v1, v2
	v_add_u32_e32 v2, 0x200, v38
	v_sub_f16_e32 v14, v14, v53
	v_sub_f16_e32 v17, v39, v56
	ds_write2_b32 v2, v0, v1 offset0:112 offset1:142
	v_lshlrev_b32_e32 v0, 1, v10
	v_mov_b32_e32 v1, 0
	v_pack_b32_f16 v19, v19, v20
	v_pack_b32_f16 v14, v14, v17
	v_lshlrev_b64 v[2:3], 2, v[0:1]
	ds_write2_b32 v38, v19, v14 offset0:120 offset1:150
	v_sub_f16_e32 v14, v59, v55
	v_sub_f16_e32 v7, v63, v41
	v_add_f16_e32 v65, v59, v55
	v_add_f16_e32 v66, v63, v41
	v_sub_f16_e32 v6, v47, v6
	v_sub_f16_e32 v4, v16, v4
	v_pack_b32_f16 v5, v14, v7
	v_mov_b32_e32 v14, s13
	v_add_co_u32_e32 v2, vcc, s12, v2
	v_pack_b32_f16 v65, v65, v66
	v_pack_b32_f16 v4, v6, v4
	v_addc_co_u32_e32 v3, vcc, v14, v3, vcc
	ds_write2_b32 v38, v57, v65 offset1:30
	ds_write2_b32 v38, v5, v4 offset0:180 offset1:210
	s_waitcnt lgkmcnt(0)
	s_barrier
	global_load_dwordx2 v[16:17], v[2:3], off offset:1188
	v_lshlrev_b32_e32 v4, 1, v35
	v_mov_b32_e32 v5, v1
	v_lshlrev_b64 v[4:5], 2, v[4:5]
	v_lshlrev_b32_e32 v6, 1, v36
	v_add_co_u32_e32 v4, vcc, s12, v4
	v_addc_co_u32_e32 v5, vcc, v14, v5, vcc
	global_load_dwordx2 v[39:40], v[4:5], off offset:1188
	v_mov_b32_e32 v7, v1
	v_lshlrev_b64 v[6:7], 2, v[6:7]
	v_add_u32_e32 v18, 0x10e, v10
	v_add_co_u32_e32 v6, vcc, s12, v6
	v_addc_co_u32_e32 v7, vcc, v14, v7, vcc
	v_subrev_u32_e32 v15, 30, v10
	v_cmp_gt_u32_e32 vcc, 30, v10
	v_cndmask_b32_e32 v20, v15, v18, vcc
	global_load_dwordx2 v[41:42], v[6:7], off offset:1188
	v_lshlrev_b32_e32 v35, 1, v20
	v_mov_b32_e32 v36, v1
	v_lshlrev_b64 v[35:36], 2, v[35:36]
	ds_read2_b32 v[45:46], v33 offset0:132 offset1:222
	v_add_co_u32_e32 v35, vcc, s12, v35
	v_addc_co_u32_e32 v36, vcc, v14, v36, vcc
	global_load_dwordx2 v[43:44], v[35:36], off offset:1188
	v_add_u32_e32 v35, 0x78, v0
	v_mov_b32_e32 v36, v1
	v_lshlrev_b64 v[35:36], 2, v[35:36]
	s_waitcnt lgkmcnt(0)
	v_lshrrev_b32_e32 v15, 16, v45
	v_add_co_u32_e32 v35, vcc, s12, v35
	v_addc_co_u32_e32 v36, vcc, v14, v36, vcc
	global_load_dwordx2 v[47:48], v[35:36], off offset:1188
	v_add_u32_e32 v35, 0x12c, v0
	v_mov_b32_e32 v36, v1
	v_lshlrev_b64 v[35:36], 2, v[35:36]
	ds_read2_b32 v[49:50], v32 offset0:8 offset1:98
	v_add_co_u32_e32 v37, vcc, s12, v35
	v_addc_co_u32_e32 v38, vcc, v14, v36, vcc
	global_load_dwordx2 v[51:52], v[37:38], off offset:1188
	s_mov_b32 s5, 0xbaee
	v_cmp_lt_u32_e32 vcc, 29, v10
	v_lshlrev_b32_e32 v20, 2, v20
	s_waitcnt vmcnt(5)
	v_mul_f16_sdwa v19, v16, v45 dst_sel:DWORD dst_unused:UNUSED_PAD src0_sel:WORD_1 src1_sel:DWORD
	v_fma_f16 v59, v16, v15, v19
	v_mul_f16_sdwa v19, v16, v15 dst_sel:DWORD dst_unused:UNUSED_PAD src0_sel:WORD_1 src1_sel:DWORD
	v_add_u32_e32 v15, 0x21c, v10
	v_lshrrev_b16_e32 v35, 2, v15
	v_fma_f16 v60, v16, v45, -v19
	v_add_u32_e32 v16, 0x276, v10
	v_mul_u32_u24_e32 v35, 0x6d3b, v35
	v_lshrrev_b16_e32 v37, 2, v16
	v_lshrrev_b32_e32 v35, 21, v35
	v_mul_u32_u24_e32 v37, 0x6d3b, v37
	v_mul_lo_u16_e32 v36, 0x12c, v35
	v_lshrrev_b32_e32 v37, 21, v37
	v_sub_u16_e32 v36, v15, v36
	v_mul_lo_u16_e32 v37, 0x12c, v37
	v_lshlrev_b32_e32 v38, 3, v36
	v_sub_u16_e32 v37, v16, v37
	global_load_dwordx2 v[53:54], v38, s[12:13] offset:1188
	v_lshlrev_b32_e32 v38, 3, v37
	s_waitcnt lgkmcnt(0)
	v_lshrrev_b32_e32 v19, 16, v49
	global_load_dwordx2 v[55:56], v38, s[12:13] offset:1188
	v_mul_f16_sdwa v38, v17, v49 dst_sel:DWORD dst_unused:UNUSED_PAD src0_sel:WORD_1 src1_sel:DWORD
	v_fma_f16 v61, v17, v19, v38
	v_mul_f16_sdwa v19, v17, v19 dst_sel:DWORD dst_unused:UNUSED_PAD src0_sel:WORD_1 src1_sel:DWORD
	v_fma_f16 v62, v17, v49, -v19
	v_lshrrev_b32_e32 v19, 16, v46
	s_waitcnt vmcnt(6)
	v_mul_f16_sdwa v17, v19, v39 dst_sel:DWORD dst_unused:UNUSED_PAD src0_sel:DWORD src1_sel:WORD_1
	v_fma_f16 v63, v46, v39, -v17
	v_add_u32_e32 v17, 0x2d0, v10
	v_lshrrev_b16_e32 v38, 2, v17
	v_mul_u32_u24_e32 v38, 0x6d3b, v38
	v_lshrrev_b32_e32 v38, 21, v38
	v_mul_f16_sdwa v45, v46, v39 dst_sel:DWORD dst_unused:UNUSED_PAD src0_sel:DWORD src1_sel:WORD_1
	v_mul_lo_u16_e32 v38, 0x12c, v38
	v_fma_f16 v64, v19, v39, v45
	v_lshrrev_b32_e32 v39, 16, v50
	v_sub_u16_e32 v38, v17, v38
	v_mul_f16_sdwa v19, v39, v40 dst_sel:DWORD dst_unused:UNUSED_PAD src0_sel:DWORD src1_sel:WORD_1
	v_lshlrev_b32_e32 v49, 3, v38
	v_fma_f16 v65, v50, v40, -v19
	v_add_u32_e32 v19, 0x32a, v10
	global_load_dwordx2 v[57:58], v49, s[12:13] offset:1188
	v_lshrrev_b16_e32 v49, 2, v19
	v_mul_u32_u24_e32 v49, 0x6d3b, v49
	v_lshrrev_b32_e32 v49, 21, v49
	v_mul_lo_u16_e32 v49, 0x12c, v49
	v_sub_u16_e32 v67, v19, v49
	v_lshlrev_b32_e32 v49, 3, v67
	v_mul_f16_sdwa v66, v50, v40 dst_sel:DWORD dst_unused:UNUSED_PAD src0_sel:DWORD src1_sel:WORD_1
	global_load_dwordx2 v[49:50], v49, s[12:13] offset:1188
	ds_read2_b32 v[45:46], v30 offset0:56 offset1:146
	v_fma_f16 v66, v39, v40, v66
	ds_read2_b32 v[39:40], v29 offset0:60 offset1:150
	v_mul_u32_u24_e32 v35, 0xe10, v35
	v_lshlrev_b32_e32 v36, 2, v36
	s_waitcnt lgkmcnt(1)
	v_lshrrev_b32_e32 v68, 16, v45
	s_waitcnt vmcnt(7)
	v_mul_f16_sdwa v69, v45, v41 dst_sel:DWORD dst_unused:UNUSED_PAD src0_sel:DWORD src1_sel:WORD_1
	v_fma_f16 v69, v68, v41, v69
	v_mul_f16_sdwa v68, v68, v41 dst_sel:DWORD dst_unused:UNUSED_PAD src0_sel:DWORD src1_sel:WORD_1
	v_fma_f16 v68, v45, v41, -v68
	s_waitcnt lgkmcnt(0)
	v_lshrrev_b32_e32 v41, 16, v39
	v_mul_f16_sdwa v45, v39, v42 dst_sel:DWORD dst_unused:UNUSED_PAD src0_sel:DWORD src1_sel:WORD_1
	v_fma_f16 v70, v41, v42, v45
	v_mul_f16_sdwa v41, v41, v42 dst_sel:DWORD dst_unused:UNUSED_PAD src0_sel:DWORD src1_sel:WORD_1
	v_fma_f16 v71, v39, v42, -v41
	v_lshrrev_b32_e32 v39, 16, v46
	s_waitcnt vmcnt(6)
	v_mul_f16_sdwa v41, v39, v43 dst_sel:DWORD dst_unused:UNUSED_PAD src0_sel:DWORD src1_sel:WORD_1
	v_fma_f16 v72, v46, v43, -v41
	v_mul_f16_sdwa v41, v46, v43 dst_sel:DWORD dst_unused:UNUSED_PAD src0_sel:DWORD src1_sel:WORD_1
	v_fma_f16 v73, v39, v43, v41
	v_lshrrev_b32_e32 v39, 16, v40
	ds_read2_b32 v[41:42], v27 offset0:108 offset1:198
	v_mul_f16_sdwa v43, v39, v44 dst_sel:DWORD dst_unused:UNUSED_PAD src0_sel:DWORD src1_sel:WORD_1
	v_fma_f16 v74, v40, v44, -v43
	v_mul_f16_sdwa v40, v40, v44 dst_sel:DWORD dst_unused:UNUSED_PAD src0_sel:DWORD src1_sel:WORD_1
	v_fma_f16 v75, v39, v44, v40
	ds_read2_b32 v[39:40], v26 offset0:112 offset1:202
	s_waitcnt lgkmcnt(1)
	v_lshrrev_b32_e32 v43, 16, v41
	s_waitcnt vmcnt(5)
	v_mul_f16_sdwa v44, v41, v47 dst_sel:DWORD dst_unused:UNUSED_PAD src0_sel:DWORD src1_sel:WORD_1
	v_fma_f16 v76, v43, v47, v44
	v_mul_f16_sdwa v43, v43, v47 dst_sel:DWORD dst_unused:UNUSED_PAD src0_sel:DWORD src1_sel:WORD_1
	v_fma_f16 v47, v41, v47, -v43
	s_waitcnt lgkmcnt(0)
	v_lshrrev_b32_e32 v41, 16, v39
	v_mul_f16_sdwa v43, v39, v48 dst_sel:DWORD dst_unused:UNUSED_PAD src0_sel:DWORD src1_sel:WORD_1
	v_fma_f16 v77, v41, v48, v43
	v_mul_f16_sdwa v41, v41, v48 dst_sel:DWORD dst_unused:UNUSED_PAD src0_sel:DWORD src1_sel:WORD_1
	v_fma_f16 v48, v39, v48, -v41
	v_lshrrev_b32_e32 v39, 16, v42
	s_waitcnt vmcnt(4)
	v_mul_f16_sdwa v41, v39, v51 dst_sel:DWORD dst_unused:UNUSED_PAD src0_sel:DWORD src1_sel:WORD_1
	v_fma_f16 v78, v42, v51, -v41
	v_mul_f16_sdwa v41, v42, v51 dst_sel:DWORD dst_unused:UNUSED_PAD src0_sel:DWORD src1_sel:WORD_1
	v_fma_f16 v51, v39, v51, v41
	v_lshrrev_b32_e32 v39, 16, v40
	ds_read2_b32 v[41:42], v11 offset0:160 offset1:250
	v_mul_f16_sdwa v43, v39, v52 dst_sel:DWORD dst_unused:UNUSED_PAD src0_sel:DWORD src1_sel:WORD_1
	v_fma_f16 v79, v40, v52, -v43
	v_mul_f16_sdwa v40, v40, v52 dst_sel:DWORD dst_unused:UNUSED_PAD src0_sel:DWORD src1_sel:WORD_1
	v_fma_f16 v52, v39, v52, v40
	ds_read2_b32 v[39:40], v22 offset0:36 offset1:126
	;; [unrolled: 26-line block ×3, first 2 shown]
	s_waitcnt lgkmcnt(1)
	v_lshrrev_b32_e32 v43, 16, v41
	s_waitcnt vmcnt(1)
	v_mul_f16_sdwa v44, v41, v57 dst_sel:DWORD dst_unused:UNUSED_PAD src0_sel:DWORD src1_sel:WORD_1
	v_fma_f16 v84, v43, v57, v44
	v_mul_f16_sdwa v43, v43, v57 dst_sel:DWORD dst_unused:UNUSED_PAD src0_sel:DWORD src1_sel:WORD_1
	v_fma_f16 v57, v41, v57, -v43
	s_waitcnt lgkmcnt(0)
	v_lshrrev_b32_e32 v41, 16, v39
	v_mul_f16_sdwa v43, v39, v58 dst_sel:DWORD dst_unused:UNUSED_PAD src0_sel:DWORD src1_sel:WORD_1
	v_fma_f16 v85, v41, v58, v43
	v_mul_f16_sdwa v41, v41, v58 dst_sel:DWORD dst_unused:UNUSED_PAD src0_sel:DWORD src1_sel:WORD_1
	v_fma_f16 v58, v39, v58, -v41
	v_lshrrev_b32_e32 v39, 16, v42
	s_waitcnt vmcnt(0)
	v_mul_f16_sdwa v41, v39, v49 dst_sel:DWORD dst_unused:UNUSED_PAD src0_sel:DWORD src1_sel:WORD_1
	v_fma_f16 v86, v42, v49, -v41
	v_mul_f16_sdwa v41, v42, v49 dst_sel:DWORD dst_unused:UNUSED_PAD src0_sel:DWORD src1_sel:WORD_1
	v_fma_f16 v49, v39, v49, v41
	ds_read2_b32 v[41:42], v21 offset1:90
	v_lshrrev_b32_e32 v39, 16, v40
	v_mul_f16_sdwa v43, v39, v50 dst_sel:DWORD dst_unused:UNUSED_PAD src0_sel:DWORD src1_sel:WORD_1
	v_fma_f16 v87, v40, v50, -v43
	v_mul_f16_sdwa v40, v40, v50 dst_sel:DWORD dst_unused:UNUSED_PAD src0_sel:DWORD src1_sel:WORD_1
	v_fma_f16 v50, v39, v50, v40
	v_add_f16_e32 v39, v60, v62
	s_waitcnt lgkmcnt(0)
	v_fma_f16 v88, v39, -0.5, v41
	v_add_f16_e32 v39, v63, v65
	v_lshrrev_b32_e32 v90, 16, v41
	v_fma_f16 v89, v39, -0.5, v42
	v_add_f16_e32 v39, v41, v60
	v_add_f16_e32 v41, v90, v59
	v_lshrrev_b32_e32 v91, 16, v42
	v_add_f16_e32 v40, v42, v63
	v_add_f16_e32 v39, v39, v62
	;; [unrolled: 1-line block ×3, first 2 shown]
	v_pack_b32_f16 v92, v39, v41
	v_add_f16_e32 v39, v40, v65
	v_add_f16_e32 v40, v91, v64
	;; [unrolled: 1-line block ×3, first 2 shown]
	v_pack_b32_f16 v93, v39, v40
	ds_read2_b32 v[39:40], v34 offset0:52 offset1:142
	ds_read2_b32 v[41:42], v31 offset0:104 offset1:194
	;; [unrolled: 1-line block ×4, first 2 shown]
	s_waitcnt lgkmcnt(0)
	s_barrier
	ds_write2_b32 v21, v92, v93 offset1:90
	v_sub_f16_e32 v92, v59, v61
	v_add_f16_e32 v59, v59, v61
	v_fma_f16 v59, v59, -0.5, v90
	v_sub_f16_e32 v60, v60, v62
	v_add_f16_e32 v62, v64, v66
	v_sub_f16_e32 v61, v64, v66
	v_fma_f16 v62, v62, -0.5, v91
	v_sub_f16_e32 v63, v63, v65
	v_fma_f16 v64, v92, s5, v88
	v_fma_f16 v65, v60, s4, v59
	v_pack_b32_f16 v64, v64, v65
	v_fma_f16 v65, v61, s5, v89
	v_fma_f16 v66, v63, s4, v62
	v_pack_b32_f16 v65, v65, v66
	ds_write2_b32 v28, v64, v65 offset0:88 offset1:178
	v_fma_f16 v64, v92, s4, v88
	v_fma_f16 v59, v60, s5, v59
	v_pack_b32_f16 v59, v64, v59
	v_lshrrev_b32_e32 v64, 16, v39
	v_add_f16_e32 v60, v39, v68
	v_add_f16_e32 v65, v64, v69
	;; [unrolled: 1-line block ×4, first 2 shown]
	v_pack_b32_f16 v60, v60, v65
	ds_write2_b32 v34, v60, v59 offset0:52 offset1:172
	v_fma_f16 v60, v63, s5, v62
	v_add_f16_e32 v62, v69, v70
	v_add_f16_e32 v63, v68, v71
	v_fma_f16 v59, v61, s4, v89
	v_sub_f16_e32 v61, v69, v70
	v_fma_f16 v62, v62, -0.5, v64
	v_sub_f16_e32 v64, v68, v71
	v_fma_f16 v39, v63, -0.5, v39
	v_pack_b32_f16 v59, v59, v60
	v_fma_f16 v60, v61, s4, v39
	v_fma_f16 v63, v64, s5, v62
	v_pack_b32_f16 v60, v60, v63
	ds_write2_b32 v31, v59, v60 offset0:134 offset1:224
	v_fma_f16 v39, v61, s5, v39
	v_fma_f16 v59, v64, s4, v62
	v_add_f16_e32 v60, v72, v74
	v_fma_f16 v60, v60, -0.5, v40
	v_lshrrev_b32_e32 v61, 16, v40
	v_sub_f16_e32 v62, v73, v75
	v_pack_b32_f16 v39, v39, v59
	v_add_f16_e32 v40, v40, v72
	v_fma_f16 v63, v62, s4, v60
	v_fma_f16 v60, v62, s5, v60
	v_add_f16_e32 v62, v61, v73
	v_add_f16_e32 v64, v73, v75
	ds_write_b32 v21, v39 offset:3120
	v_mov_b32_e32 v39, 0xe10
	v_add_f16_e32 v62, v62, v75
	v_fma_f16 v61, v64, -0.5, v61
	v_add_f16_e32 v40, v40, v74
	v_sub_f16_e32 v64, v72, v74
	v_cndmask_b32_e32 v39, 0, v39, vcc
	v_fma_f16 v65, v64, s5, v61
	v_add3_u32 v20, 0, v39, v20
	v_pack_b32_f16 v39, v40, v62
	v_fma_f16 v61, v64, s4, v61
	ds_write_b32 v20, v39
	v_pack_b32_f16 v39, v63, v65
	ds_write_b32 v20, v39 offset:1200
	v_pack_b32_f16 v39, v60, v61
	ds_write_b32 v20, v39 offset:2400
	v_lshrrev_b32_e32 v39, 16, v41
	v_add_f16_e32 v20, v41, v47
	v_add_f16_e32 v40, v39, v76
	;; [unrolled: 1-line block ×4, first 2 shown]
	v_lshrrev_b32_e32 v59, 16, v42
	v_pack_b32_f16 v20, v20, v40
	v_add_f16_e32 v40, v42, v78
	v_add_f16_e32 v60, v59, v51
	;; [unrolled: 1-line block ×4, first 2 shown]
	v_pack_b32_f16 v40, v40, v60
	v_add_u32_e32 v60, 0xe00, v21
	ds_write2_b32 v60, v20, v40 offset0:64 offset1:154
	v_add_f16_e32 v40, v78, v79
	v_add_f16_e32 v20, v47, v48
	v_fma_f16 v40, v40, -0.5, v42
	v_add_f16_e32 v42, v76, v77
	v_fma_f16 v20, v20, -0.5, v41
	v_sub_f16_e32 v41, v76, v77
	v_fma_f16 v39, v42, -0.5, v39
	v_sub_f16_e32 v42, v47, v48
	v_add_f16_e32 v48, v51, v52
	v_sub_f16_e32 v47, v51, v52
	v_fma_f16 v48, v48, -0.5, v59
	v_sub_f16_e32 v51, v78, v79
	v_fma_f16 v52, v41, s4, v20
	v_fma_f16 v59, v42, s5, v39
	v_pack_b32_f16 v52, v52, v59
	v_fma_f16 v59, v47, s4, v40
	v_fma_f16 v20, v41, s5, v20
	;; [unrolled: 1-line block ×5, first 2 shown]
	v_pack_b32_f16 v20, v20, v39
	v_pack_b32_f16 v39, v40, v41
	ds_write2_b32 v24, v20, v39 offset0:24 offset1:114
	v_add_f16_e32 v20, v53, v54
	v_fma_f16 v20, v20, -0.5, v43
	v_sub_f16_e32 v39, v80, v81
	v_fma_f16 v40, v39, s4, v20
	v_fma_f16 v20, v39, s5, v20
	v_lshrrev_b32_e32 v39, 16, v43
	v_add_f16_e32 v42, v80, v81
	v_add_f16_e32 v41, v39, v80
	v_fma_f16 v39, v42, -0.5, v39
	v_add_f16_e32 v42, v43, v53
	v_sub_f16_e32 v43, v53, v54
	v_fma_f16 v60, v51, s5, v48
	v_add_f16_e32 v41, v41, v81
	v_add_f16_e32 v42, v42, v54
	v_fma_f16 v47, v43, s5, v39
	v_fma_f16 v39, v43, s4, v39
	v_pack_b32_f16 v59, v59, v60
	v_add3_u32 v35, 0, v35, v36
	v_pack_b32_f16 v36, v42, v41
	v_pack_b32_f16 v20, v20, v39
	ds_write2_b32 v27, v52, v59 offset0:108 offset1:198
	ds_write_b32 v35, v36
	v_pack_b32_f16 v36, v40, v47
	ds_write_b32 v35, v20 offset:2400
	v_add_f16_e32 v20, v82, v83
	ds_write_b32 v35, v36 offset:1200
	v_fma_f16 v20, v20, -0.5, v44
	v_lshrrev_b32_e32 v35, 16, v44
	v_sub_f16_e32 v39, v55, v56
	v_add_f16_e32 v41, v55, v56
	v_fma_f16 v40, v39, s4, v20
	v_fma_f16 v20, v39, s5, v20
	v_add_f16_e32 v39, v35, v55
	v_fma_f16 v35, v41, -0.5, v35
	v_sub_f16_e32 v41, v82, v83
	v_add_f16_e32 v36, v44, v82
	v_fma_f16 v42, v41, s5, v35
	v_fma_f16 v35, v41, s4, v35
	v_add_f16_e32 v39, v39, v56
	v_add_f16_e32 v36, v36, v83
	v_lshl_add_u32 v37, v37, 2, 0
	v_pack_b32_f16 v20, v20, v35
	v_pack_b32_f16 v36, v36, v39
	ds_write_b32 v37, v20 offset:9600
	v_add_f16_e32 v20, v57, v58
	ds_write_b32 v37, v36 offset:7200
	v_pack_b32_f16 v36, v40, v42
	v_fma_f16 v20, v20, -0.5, v45
	v_sub_f16_e32 v35, v84, v85
	ds_write_b32 v37, v36 offset:8400
	v_fma_f16 v36, v35, s4, v20
	v_fma_f16 v20, v35, s5, v20
	v_lshrrev_b32_e32 v35, 16, v45
	v_add_f16_e32 v39, v84, v85
	v_add_f16_e32 v37, v35, v84
	v_fma_f16 v35, v39, -0.5, v35
	v_sub_f16_e32 v40, v57, v58
	v_add_f16_e32 v39, v45, v57
	v_fma_f16 v41, v40, s5, v35
	v_fma_f16 v35, v40, s4, v35
	v_add_f16_e32 v37, v37, v85
	v_add_f16_e32 v39, v39, v58
	v_lshl_add_u32 v38, v38, 2, 0
	v_pack_b32_f16 v20, v20, v35
	v_pack_b32_f16 v37, v39, v37
	ds_write_b32 v38, v20 offset:9600
	v_add_f16_e32 v20, v86, v87
	ds_write_b32 v38, v37 offset:7200
	v_pack_b32_f16 v36, v36, v41
	v_fma_f16 v20, v20, -0.5, v46
	v_lshrrev_b32_e32 v35, 16, v46
	v_sub_f16_e32 v37, v49, v50
	ds_write_b32 v38, v36 offset:8400
	v_add_f16_e32 v36, v46, v86
	v_fma_f16 v38, v37, s4, v20
	v_fma_f16 v20, v37, s5, v20
	v_add_f16_e32 v37, v35, v49
	v_add_f16_e32 v39, v49, v50
	;; [unrolled: 1-line block ×3, first 2 shown]
	v_fma_f16 v35, v39, -0.5, v35
	v_add_f16_e32 v36, v36, v87
	v_sub_f16_e32 v39, v86, v87
	v_fma_f16 v40, v39, s5, v35
	v_fma_f16 v35, v39, s4, v35
	v_pack_b32_f16 v36, v36, v37
	v_lshl_add_u32 v37, v67, 2, 0
	ds_write_b32 v37, v36 offset:7200
	v_pack_b32_f16 v36, v38, v40
	v_pack_b32_f16 v20, v20, v35
	ds_write_b32 v37, v36 offset:8400
	ds_write_b32 v37, v20 offset:9600
	s_waitcnt lgkmcnt(0)
	s_barrier
	global_load_dwordx2 v[35:36], v[2:3], off offset:3588
	global_load_dwordx2 v[37:38], v[4:5], off offset:3588
	global_load_dwordx2 v[39:40], v[6:7], off offset:3588
	v_lshlrev_b32_e32 v2, 1, v18
	v_mov_b32_e32 v3, v1
	v_lshlrev_b64 v[2:3], 2, v[2:3]
	v_add_u32_e32 v6, 0x2d0, v0
	v_add_co_u32_e32 v2, vcc, s12, v2
	v_addc_co_u32_e32 v3, vcc, v14, v3, vcc
	global_load_dwordx2 v[2:3], v[2:3], off offset:3588
	v_mov_b32_e32 v7, v1
	v_lshlrev_b64 v[6:7], 2, v[6:7]
	ds_read2_b32 v[4:5], v33 offset0:132 offset1:222
	v_add_co_u32_e32 v6, vcc, s12, v6
	v_addc_co_u32_e32 v7, vcc, v14, v7, vcc
	global_load_dwordx2 v[6:7], v[6:7], off offset:3588
	v_add_u32_e32 v0, 0x384, v0
	v_lshlrev_b64 v[43:44], 2, v[0:1]
	ds_read2_b32 v[41:42], v32 offset0:8 offset1:98
	v_add_co_u32_e32 v43, vcc, s12, v43
	v_addc_co_u32_e32 v44, vcc, v14, v44, vcc
	s_waitcnt lgkmcnt(1)
	v_lshrrev_b32_e32 v18, 16, v4
	global_load_dwordx2 v[43:44], v[43:44], off offset:3588
	s_waitcnt vmcnt(5)
	v_mul_f16_sdwa v20, v35, v4 dst_sel:DWORD dst_unused:UNUSED_PAD src0_sel:WORD_1 src1_sel:DWORD
	v_fma_f16 v47, v35, v18, v20
	v_mul_f16_sdwa v18, v35, v18 dst_sel:DWORD dst_unused:UNUSED_PAD src0_sel:WORD_1 src1_sel:DWORD
	v_fma_f16 v48, v35, v4, -v18
	s_waitcnt lgkmcnt(0)
	v_lshrrev_b32_e32 v4, 16, v41
	v_mul_f16_sdwa v0, v36, v41 dst_sel:DWORD dst_unused:UNUSED_PAD src0_sel:WORD_1 src1_sel:DWORD
	v_fma_f16 v49, v36, v4, v0
	v_lshlrev_b32_e32 v0, 1, v15
	v_lshlrev_b64 v[45:46], 2, v[0:1]
	v_mul_f16_sdwa v0, v36, v4 dst_sel:DWORD dst_unused:UNUSED_PAD src0_sel:WORD_1 src1_sel:DWORD
	v_add_co_u32_e32 v45, vcc, s12, v45
	v_addc_co_u32_e32 v46, vcc, v14, v46, vcc
	global_load_dwordx2 v[45:46], v[45:46], off offset:3588
	v_fma_f16 v41, v36, v41, -v0
	v_lshlrev_b32_e32 v0, 1, v16
	v_lshlrev_b64 v[15:16], 2, v[0:1]
	ds_read_u16 v18, v21 offset:3962
	v_add_co_u32_e32 v15, vcc, s12, v15
	v_addc_co_u32_e32 v16, vcc, v14, v16, vcc
	global_load_dwordx2 v[15:16], v[15:16], off offset:3588
	s_waitcnt vmcnt(6) lgkmcnt(0)
	v_mul_f16_sdwa v4, v18, v37 dst_sel:DWORD dst_unused:UNUSED_PAD src0_sel:DWORD src1_sel:WORD_1
	v_mul_f16_sdwa v0, v37, v5 dst_sel:DWORD dst_unused:UNUSED_PAD src0_sel:WORD_1 src1_sel:DWORD
	v_fma_f16 v50, v37, v5, -v4
	v_fma_f16 v37, v18, v37, v0
	v_lshlrev_b32_e32 v0, 1, v17
	v_lshlrev_b64 v[4:5], 2, v[0:1]
	v_lshlrev_b32_e32 v0, 1, v19
	v_add_co_u32_e32 v4, vcc, s12, v4
	v_addc_co_u32_e32 v5, vcc, v14, v5, vcc
	global_load_dwordx2 v[4:5], v[4:5], off offset:3588
	v_lshlrev_b64 v[19:20], 2, v[0:1]
	v_lshrrev_b32_e32 v35, 16, v42
	v_add_co_u32_e32 v19, vcc, s12, v19
	v_addc_co_u32_e32 v20, vcc, v14, v20, vcc
	global_load_dwordx2 v[19:20], v[19:20], off offset:3588
	v_mul_f16_sdwa v18, v35, v38 dst_sel:DWORD dst_unused:UNUSED_PAD src0_sel:DWORD src1_sel:WORD_1
	v_fma_f16 v51, v42, v38, -v18
	ds_read2_b32 v[17:18], v30 offset0:56 offset1:146
	v_mul_f16_sdwa v36, v42, v38 dst_sel:DWORD dst_unused:UNUSED_PAD src0_sel:DWORD src1_sel:WORD_1
	v_fma_f16 v0, v35, v38, v36
	ds_read2_b32 v[35:36], v29 offset0:60 offset1:150
	s_waitcnt lgkmcnt(1)
	v_lshrrev_b32_e32 v14, 16, v17
	s_waitcnt vmcnt(7)
	v_mul_f16_sdwa v38, v17, v39 dst_sel:DWORD dst_unused:UNUSED_PAD src0_sel:DWORD src1_sel:WORD_1
	v_fma_f16 v38, v14, v39, v38
	v_mul_f16_sdwa v14, v14, v39 dst_sel:DWORD dst_unused:UNUSED_PAD src0_sel:DWORD src1_sel:WORD_1
	v_fma_f16 v39, v17, v39, -v14
	s_waitcnt lgkmcnt(0)
	v_lshrrev_b32_e32 v14, 16, v35
	v_mul_f16_sdwa v17, v35, v40 dst_sel:DWORD dst_unused:UNUSED_PAD src0_sel:DWORD src1_sel:WORD_1
	v_fma_f16 v42, v14, v40, v17
	v_mul_f16_sdwa v14, v14, v40 dst_sel:DWORD dst_unused:UNUSED_PAD src0_sel:DWORD src1_sel:WORD_1
	v_fma_f16 v35, v35, v40, -v14
	v_lshrrev_b32_e32 v14, 16, v18
	s_waitcnt vmcnt(6)
	v_mul_f16_sdwa v17, v14, v2 dst_sel:DWORD dst_unused:UNUSED_PAD src0_sel:DWORD src1_sel:WORD_1
	v_fma_f16 v40, v18, v2, -v17
	v_mul_f16_sdwa v17, v18, v2 dst_sel:DWORD dst_unused:UNUSED_PAD src0_sel:DWORD src1_sel:WORD_1
	v_fma_f16 v52, v14, v2, v17
	v_lshrrev_b32_e32 v2, 16, v36
	ds_read2_b32 v[17:18], v27 offset0:108 offset1:198
	v_mul_f16_sdwa v14, v2, v3 dst_sel:DWORD dst_unused:UNUSED_PAD src0_sel:DWORD src1_sel:WORD_1
	v_fma_f16 v53, v36, v3, -v14
	v_mul_f16_sdwa v14, v36, v3 dst_sel:DWORD dst_unused:UNUSED_PAD src0_sel:DWORD src1_sel:WORD_1
	v_fma_f16 v36, v2, v3, v14
	ds_read2_b32 v[2:3], v26 offset0:112 offset1:202
	s_waitcnt lgkmcnt(1)
	v_lshrrev_b32_e32 v14, 16, v17
	s_waitcnt vmcnt(5)
	v_mul_f16_sdwa v54, v17, v6 dst_sel:DWORD dst_unused:UNUSED_PAD src0_sel:DWORD src1_sel:WORD_1
	v_fma_f16 v54, v14, v6, v54
	v_mul_f16_sdwa v14, v14, v6 dst_sel:DWORD dst_unused:UNUSED_PAD src0_sel:DWORD src1_sel:WORD_1
	v_fma_f16 v55, v17, v6, -v14
	s_waitcnt lgkmcnt(0)
	v_lshrrev_b32_e32 v6, 16, v2
	v_mul_f16_sdwa v14, v2, v7 dst_sel:DWORD dst_unused:UNUSED_PAD src0_sel:DWORD src1_sel:WORD_1
	v_fma_f16 v56, v6, v7, v14
	v_mul_f16_sdwa v6, v6, v7 dst_sel:DWORD dst_unused:UNUSED_PAD src0_sel:DWORD src1_sel:WORD_1
	v_fma_f16 v57, v2, v7, -v6
	v_lshrrev_b32_e32 v2, 16, v18
	s_waitcnt vmcnt(4)
	v_mul_f16_sdwa v6, v2, v43 dst_sel:DWORD dst_unused:UNUSED_PAD src0_sel:DWORD src1_sel:WORD_1
	v_fma_f16 v58, v18, v43, -v6
	v_mul_f16_sdwa v6, v18, v43 dst_sel:DWORD dst_unused:UNUSED_PAD src0_sel:DWORD src1_sel:WORD_1
	v_fma_f16 v18, v2, v43, v6
	v_lshrrev_b32_e32 v2, 16, v3
	ds_read2_b32 v[6:7], v11 offset0:160 offset1:250
	v_mul_f16_sdwa v14, v2, v44 dst_sel:DWORD dst_unused:UNUSED_PAD src0_sel:DWORD src1_sel:WORD_1
	v_fma_f16 v43, v3, v44, -v14
	;; [unrolled: 26-line block ×3, first 2 shown]
	v_mul_f16_sdwa v3, v3, v16 dst_sel:DWORD dst_unused:UNUSED_PAD src0_sel:DWORD src1_sel:WORD_1
	v_fma_f16 v64, v2, v16, v3
	ds_read2_b32 v[2:3], v25 offset0:88 offset1:178
	s_waitcnt lgkmcnt(1)
	v_lshrrev_b32_e32 v14, 16, v6
	s_waitcnt vmcnt(1)
	v_mul_f16_sdwa v15, v6, v4 dst_sel:DWORD dst_unused:UNUSED_PAD src0_sel:DWORD src1_sel:WORD_1
	v_fma_f16 v65, v14, v4, v15
	v_mul_f16_sdwa v14, v14, v4 dst_sel:DWORD dst_unused:UNUSED_PAD src0_sel:DWORD src1_sel:WORD_1
	v_fma_f16 v66, v6, v4, -v14
	s_waitcnt lgkmcnt(0)
	v_lshrrev_b32_e32 v4, 16, v2
	v_mul_f16_sdwa v6, v2, v5 dst_sel:DWORD dst_unused:UNUSED_PAD src0_sel:DWORD src1_sel:WORD_1
	v_fma_f16 v67, v4, v5, v6
	v_mul_f16_sdwa v4, v4, v5 dst_sel:DWORD dst_unused:UNUSED_PAD src0_sel:DWORD src1_sel:WORD_1
	v_fma_f16 v68, v2, v5, -v4
	v_lshrrev_b32_e32 v2, 16, v7
	s_waitcnt vmcnt(0)
	v_mul_f16_sdwa v4, v2, v19 dst_sel:DWORD dst_unused:UNUSED_PAD src0_sel:DWORD src1_sel:WORD_1
	v_fma_f16 v69, v7, v19, -v4
	v_mul_f16_sdwa v4, v7, v19 dst_sel:DWORD dst_unused:UNUSED_PAD src0_sel:DWORD src1_sel:WORD_1
	v_fma_f16 v19, v2, v19, v4
	ds_read2_b32 v[4:5], v21 offset1:90
	v_lshrrev_b32_e32 v2, 16, v3
	v_mul_f16_sdwa v6, v2, v20 dst_sel:DWORD dst_unused:UNUSED_PAD src0_sel:DWORD src1_sel:WORD_1
	v_fma_f16 v70, v3, v20, -v6
	v_mul_f16_sdwa v3, v3, v20 dst_sel:DWORD dst_unused:UNUSED_PAD src0_sel:DWORD src1_sel:WORD_1
	s_waitcnt lgkmcnt(0)
	v_lshrrev_b32_e32 v71, 16, v4
	v_fma_f16 v20, v2, v20, v3
	v_add_f16_e32 v2, v4, v48
	v_add_f16_e32 v3, v71, v47
	;; [unrolled: 1-line block ×4, first 2 shown]
	v_lshrrev_b32_e32 v73, 16, v5
	v_pack_b32_f16 v72, v2, v3
	v_add_f16_e32 v2, v5, v50
	v_add_f16_e32 v3, v73, v37
	;; [unrolled: 1-line block ×4, first 2 shown]
	v_pack_b32_f16 v74, v2, v3
	ds_read2_b32 v[2:3], v34 offset0:52 offset1:142
	ds_read2_b32 v[6:7], v31 offset0:104 offset1:194
	;; [unrolled: 1-line block ×4, first 2 shown]
	s_waitcnt lgkmcnt(0)
	s_barrier
	ds_write2_b32 v21, v72, v74 offset1:90
	v_add_f16_e32 v21, v48, v41
	v_fma_f16 v4, v21, -0.5, v4
	v_add_f16_e32 v21, v50, v51
	v_fma_f16 v5, v21, -0.5, v5
	v_sub_f16_e32 v21, v47, v49
	v_add_f16_e32 v47, v47, v49
	v_fma_f16 v47, v47, -0.5, v71
	v_sub_f16_e32 v41, v48, v41
	v_sub_f16_e32 v48, v37, v0
	v_add_f16_e32 v0, v37, v0
	v_fma_f16 v0, v0, -0.5, v73
	v_sub_f16_e32 v37, v50, v51
	v_fma_f16 v49, v21, s4, v4
	v_fma_f16 v50, v41, s5, v47
	v_pack_b32_f16 v49, v49, v50
	v_fma_f16 v50, v48, s4, v5
	v_fma_f16 v51, v37, s5, v0
	;; [unrolled: 1-line block ×6, first 2 shown]
	v_pack_b32_f16 v4, v4, v21
	v_pack_b32_f16 v0, v5, v0
	ds_write2_b32 v32, v4, v0 offset0:8 offset1:98
	v_lshrrev_b32_e32 v4, 16, v2
	v_add_f16_e32 v0, v2, v39
	v_add_f16_e32 v5, v4, v38
	;; [unrolled: 1-line block ×4, first 2 shown]
	v_lshrrev_b32_e32 v21, 16, v3
	v_pack_b32_f16 v0, v0, v5
	v_add_f16_e32 v5, v3, v40
	v_add_f16_e32 v32, v21, v52
	;; [unrolled: 1-line block ×4, first 2 shown]
	v_pack_b32_f16 v5, v5, v32
	ds_write2_b32 v34, v0, v5 offset0:52 offset1:142
	v_add_f16_e32 v0, v39, v35
	v_pack_b32_f16 v50, v50, v51
	v_fma_f16 v0, v0, -0.5, v2
	v_add_f16_e32 v2, v40, v53
	v_add_f16_e32 v5, v38, v42
	ds_write2_b32 v33, v49, v50 offset0:132 offset1:222
	v_fma_f16 v2, v2, -0.5, v3
	v_sub_f16_e32 v3, v38, v42
	v_fma_f16 v4, v5, -0.5, v4
	v_sub_f16_e32 v5, v39, v35
	v_add_f16_e32 v33, v52, v36
	v_sub_f16_e32 v32, v52, v36
	v_fma_f16 v21, v33, -0.5, v21
	v_sub_f16_e32 v33, v40, v53
	v_fma_f16 v34, v3, s4, v0
	v_fma_f16 v35, v5, s5, v4
	v_pack_b32_f16 v34, v34, v35
	v_fma_f16 v35, v32, s4, v2
	v_fma_f16 v0, v3, s5, v0
	;; [unrolled: 1-line block ×5, first 2 shown]
	v_pack_b32_f16 v0, v0, v3
	v_pack_b32_f16 v2, v2, v4
	ds_write2_b32 v29, v0, v2 offset0:60 offset1:150
	v_lshrrev_b32_e32 v2, 16, v6
	v_add_f16_e32 v0, v6, v55
	v_add_f16_e32 v3, v2, v54
	;; [unrolled: 1-line block ×4, first 2 shown]
	v_lshrrev_b32_e32 v4, 16, v7
	v_pack_b32_f16 v0, v0, v3
	v_add_f16_e32 v3, v7, v58
	v_add_f16_e32 v5, v4, v18
	;; [unrolled: 1-line block ×4, first 2 shown]
	v_pack_b32_f16 v3, v3, v5
	ds_write2_b32 v31, v0, v3 offset0:104 offset1:194
	v_add_f16_e32 v0, v55, v57
	v_fma_f16 v0, v0, -0.5, v6
	v_add_f16_e32 v3, v58, v43
	v_add_f16_e32 v6, v54, v56
	v_fma_f16 v36, v33, s5, v21
	v_fma_f16 v3, v3, -0.5, v7
	v_sub_f16_e32 v5, v54, v56
	v_fma_f16 v2, v6, -0.5, v2
	v_sub_f16_e32 v6, v55, v57
	v_sub_f16_e32 v7, v18, v44
	v_add_f16_e32 v18, v18, v44
	v_pack_b32_f16 v35, v35, v36
	v_fma_f16 v4, v18, -0.5, v4
	v_sub_f16_e32 v18, v58, v43
	v_fma_f16 v21, v5, s4, v0
	v_fma_f16 v29, v6, s5, v2
	ds_write2_b32 v30, v34, v35 offset0:56 offset1:146
	v_pack_b32_f16 v21, v21, v29
	v_fma_f16 v29, v7, s4, v3
	v_fma_f16 v30, v18, s5, v4
	;; [unrolled: 1-line block ×6, first 2 shown]
	v_pack_b32_f16 v0, v0, v2
	v_pack_b32_f16 v2, v3, v4
	ds_write2_b32 v26, v0, v2 offset0:112 offset1:202
	v_lshrrev_b32_e32 v2, 16, v14
	v_add_f16_e32 v0, v14, v45
	v_add_f16_e32 v3, v2, v59
	;; [unrolled: 1-line block ×4, first 2 shown]
	v_lshrrev_b32_e32 v4, 16, v15
	v_pack_b32_f16 v0, v0, v3
	v_add_f16_e32 v3, v15, v61
	v_add_f16_e32 v5, v4, v62
	;; [unrolled: 1-line block ×4, first 2 shown]
	v_pack_b32_f16 v3, v3, v5
	ds_write2_b32 v28, v0, v3 offset0:28 offset1:118
	v_add_f16_e32 v0, v45, v46
	v_fma_f16 v0, v0, -0.5, v14
	v_sub_f16_e32 v5, v59, v60
	v_fma_f16 v6, v5, s4, v0
	v_fma_f16 v0, v5, s5, v0
	v_add_f16_e32 v5, v59, v60
	v_add_f16_e32 v3, v61, v63
	v_fma_f16 v2, v5, -0.5, v2
	v_sub_f16_e32 v5, v45, v46
	v_fma_f16 v3, v3, -0.5, v15
	v_fma_f16 v7, v5, s5, v2
	v_fma_f16 v2, v5, s4, v2
	v_sub_f16_e32 v5, v62, v64
	v_fma_f16 v14, v5, s4, v3
	v_fma_f16 v3, v5, s5, v3
	v_add_f16_e32 v5, v62, v64
	v_fma_f16 v4, v5, -0.5, v4
	v_sub_f16_e32 v5, v61, v63
	v_fma_f16 v15, v5, s5, v4
	v_fma_f16 v4, v5, s4, v4
	v_add_f16_e32 v5, v66, v68
	v_pack_b32_f16 v29, v29, v30
	v_fma_f16 v5, v5, -0.5, v16
	v_sub_f16_e32 v18, v65, v67
	ds_write2_b32 v27, v21, v29 offset0:108 offset1:198
	v_fma_f16 v21, v18, s4, v5
	v_fma_f16 v5, v18, s5, v5
	v_lshrrev_b32_e32 v18, 16, v16
	v_add_f16_e32 v27, v65, v67
	v_add_f16_e32 v26, v18, v65
	v_fma_f16 v18, v27, -0.5, v18
	v_sub_f16_e32 v27, v66, v68
	v_fma_f16 v28, v27, s5, v18
	v_fma_f16 v18, v27, s4, v18
	v_add_f16_e32 v27, v69, v70
	v_fma_f16 v27, v27, -0.5, v17
	v_lshrrev_b32_e32 v29, 16, v17
	v_sub_f16_e32 v30, v19, v20
	v_add_f16_e32 v16, v16, v66
	v_add_f16_e32 v17, v17, v69
	v_fma_f16 v31, v30, s4, v27
	v_fma_f16 v27, v30, s5, v27
	v_add_f16_e32 v30, v29, v19
	v_add_f16_e32 v19, v19, v20
	v_pack_b32_f16 v6, v6, v7
	v_pack_b32_f16 v0, v0, v2
	;; [unrolled: 1-line block ×3, first 2 shown]
	v_add_f16_e32 v26, v26, v67
	v_add_f16_e32 v16, v16, v68
	;; [unrolled: 1-line block ×3, first 2 shown]
	v_fma_f16 v19, v19, -0.5, v29
	v_add_f16_e32 v17, v17, v70
	v_sub_f16_e32 v20, v69, v70
	ds_write2_b32 v11, v6, v2 offset0:160 offset1:250
	v_pack_b32_f16 v2, v3, v4
	v_fma_f16 v29, v20, s5, v19
	ds_write2_b32 v22, v0, v2 offset0:36 offset1:126
	v_pack_b32_f16 v0, v16, v26
	v_pack_b32_f16 v4, v17, v30
	v_fma_f16 v19, v20, s4, v19
	v_pack_b32_f16 v2, v21, v28
	ds_write2_b32 v23, v0, v4 offset0:80 offset1:170
	v_pack_b32_f16 v0, v31, v29
	v_pack_b32_f16 v3, v5, v18
	ds_write2_b32 v24, v2, v0 offset0:84 offset1:174
	v_pack_b32_f16 v0, v27, v19
	ds_write2_b32 v25, v3, v0 offset0:88 offset1:178
	s_waitcnt lgkmcnt(0)
	s_barrier
	s_and_saveexec_b64 s[4:5], s[0:1]
	s_cbranch_execz .LBB0_21
; %bb.20:
	v_mul_lo_u32 v0, s3, v12
	v_mul_lo_u32 v4, s2, v13
	v_mad_u64_u32 v[2:3], s[0:1], s2, v12, 0
	v_lshl_add_u32 v6, v10, 2, 0
	v_mov_b32_e32 v11, v1
	v_add3_u32 v3, v3, v4, v0
	v_lshlrev_b64 v[2:3], 2, v[2:3]
	v_mov_b32_e32 v0, s11
	v_add_co_u32_e32 v7, vcc, s10, v2
	v_addc_co_u32_e32 v0, vcc, v0, v3, vcc
	v_lshlrev_b64 v[2:3], 2, v[8:9]
	ds_read2_b32 v[4:5], v6 offset1:90
	v_add_co_u32_e32 v7, vcc, v7, v2
	v_addc_co_u32_e32 v8, vcc, v0, v3, vcc
	v_lshlrev_b64 v[2:3], 2, v[10:11]
	v_add_u32_e32 v0, 0x5a, v10
	v_add_co_u32_e32 v2, vcc, v7, v2
	v_addc_co_u32_e32 v3, vcc, v8, v3, vcc
	s_waitcnt lgkmcnt(0)
	global_store_dword v[2:3], v4, off
	v_lshlrev_b64 v[2:3], 2, v[0:1]
	v_add_u32_e32 v0, 0xb4, v10
	v_add_co_u32_e32 v2, vcc, v7, v2
	v_addc_co_u32_e32 v3, vcc, v8, v3, vcc
	global_store_dword v[2:3], v5, off
	v_add_u32_e32 v2, 0x200, v6
	ds_read2_b32 v[2:3], v2 offset0:52 offset1:142
	v_lshlrev_b64 v[4:5], 2, v[0:1]
	v_add_u32_e32 v0, 0x10e, v10
	v_add_co_u32_e32 v4, vcc, v7, v4
	v_addc_co_u32_e32 v5, vcc, v8, v5, vcc
	s_waitcnt lgkmcnt(0)
	global_store_dword v[4:5], v2, off
	v_lshlrev_b64 v[4:5], 2, v[0:1]
	v_add_u32_e32 v2, 0x400, v6
	v_add_co_u32_e32 v4, vcc, v7, v4
	v_addc_co_u32_e32 v5, vcc, v8, v5, vcc
	global_store_dword v[4:5], v3, off
	v_add_u32_e32 v0, 0x168, v10
	ds_read2_b32 v[2:3], v2 offset0:104 offset1:194
	;; [unrolled: 13-line block ×13, first 2 shown]
	v_lshlrev_b64 v[4:5], 2, v[0:1]
	v_add_u32_e32 v0, 0x97e, v10
	v_add_co_u32_e32 v4, vcc, v7, v4
	v_addc_co_u32_e32 v5, vcc, v8, v5, vcc
	s_waitcnt lgkmcnt(0)
	global_store_dword v[4:5], v2, off
	v_lshlrev_b64 v[4:5], 2, v[0:1]
	v_add_u32_e32 v0, 0x9d8, v10
	v_add_co_u32_e32 v4, vcc, v7, v4
	v_addc_co_u32_e32 v5, vcc, v8, v5, vcc
	global_store_dword v[4:5], v3, off
	v_add_u32_e32 v2, 0x2600, v6
	v_lshlrev_b64 v[4:5], 2, v[0:1]
	ds_read2_b32 v[2:3], v2 offset0:88 offset1:178
	v_add_u32_e32 v0, 0xa32, v10
	v_add_co_u32_e32 v4, vcc, v7, v4
	v_lshlrev_b64 v[0:1], 2, v[0:1]
	v_addc_co_u32_e32 v5, vcc, v8, v5, vcc
	v_add_co_u32_e32 v0, vcc, v7, v0
	v_addc_co_u32_e32 v1, vcc, v8, v1, vcc
	s_waitcnt lgkmcnt(0)
	global_store_dword v[4:5], v2, off
	global_store_dword v[0:1], v3, off
.LBB0_21:
	s_endpgm
	.section	.rodata,"a",@progbits
	.p2align	6, 0x0
	.amdhsa_kernel fft_rtc_fwd_len2700_factors_3_10_10_3_3_wgs_90_tpt_90_halfLds_half_op_CI_CI_unitstride_sbrr_C2R_dirReg
		.amdhsa_group_segment_fixed_size 0
		.amdhsa_private_segment_fixed_size 0
		.amdhsa_kernarg_size 104
		.amdhsa_user_sgpr_count 6
		.amdhsa_user_sgpr_private_segment_buffer 1
		.amdhsa_user_sgpr_dispatch_ptr 0
		.amdhsa_user_sgpr_queue_ptr 0
		.amdhsa_user_sgpr_kernarg_segment_ptr 1
		.amdhsa_user_sgpr_dispatch_id 0
		.amdhsa_user_sgpr_flat_scratch_init 0
		.amdhsa_user_sgpr_private_segment_size 0
		.amdhsa_uses_dynamic_stack 0
		.amdhsa_system_sgpr_private_segment_wavefront_offset 0
		.amdhsa_system_sgpr_workgroup_id_x 1
		.amdhsa_system_sgpr_workgroup_id_y 0
		.amdhsa_system_sgpr_workgroup_id_z 0
		.amdhsa_system_sgpr_workgroup_info 0
		.amdhsa_system_vgpr_workitem_id 0
		.amdhsa_next_free_vgpr 113
		.amdhsa_next_free_sgpr 28
		.amdhsa_reserve_vcc 1
		.amdhsa_reserve_flat_scratch 0
		.amdhsa_float_round_mode_32 0
		.amdhsa_float_round_mode_16_64 0
		.amdhsa_float_denorm_mode_32 3
		.amdhsa_float_denorm_mode_16_64 3
		.amdhsa_dx10_clamp 1
		.amdhsa_ieee_mode 1
		.amdhsa_fp16_overflow 0
		.amdhsa_exception_fp_ieee_invalid_op 0
		.amdhsa_exception_fp_denorm_src 0
		.amdhsa_exception_fp_ieee_div_zero 0
		.amdhsa_exception_fp_ieee_overflow 0
		.amdhsa_exception_fp_ieee_underflow 0
		.amdhsa_exception_fp_ieee_inexact 0
		.amdhsa_exception_int_div_zero 0
	.end_amdhsa_kernel
	.text
.Lfunc_end0:
	.size	fft_rtc_fwd_len2700_factors_3_10_10_3_3_wgs_90_tpt_90_halfLds_half_op_CI_CI_unitstride_sbrr_C2R_dirReg, .Lfunc_end0-fft_rtc_fwd_len2700_factors_3_10_10_3_3_wgs_90_tpt_90_halfLds_half_op_CI_CI_unitstride_sbrr_C2R_dirReg
                                        ; -- End function
	.section	.AMDGPU.csdata,"",@progbits
; Kernel info:
; codeLenInByte = 21176
; NumSgprs: 32
; NumVgprs: 113
; ScratchSize: 0
; MemoryBound: 0
; FloatMode: 240
; IeeeMode: 1
; LDSByteSize: 0 bytes/workgroup (compile time only)
; SGPRBlocks: 3
; VGPRBlocks: 28
; NumSGPRsForWavesPerEU: 32
; NumVGPRsForWavesPerEU: 113
; Occupancy: 2
; WaveLimiterHint : 1
; COMPUTE_PGM_RSRC2:SCRATCH_EN: 0
; COMPUTE_PGM_RSRC2:USER_SGPR: 6
; COMPUTE_PGM_RSRC2:TRAP_HANDLER: 0
; COMPUTE_PGM_RSRC2:TGID_X_EN: 1
; COMPUTE_PGM_RSRC2:TGID_Y_EN: 0
; COMPUTE_PGM_RSRC2:TGID_Z_EN: 0
; COMPUTE_PGM_RSRC2:TIDIG_COMP_CNT: 0
	.type	__hip_cuid_f39671ab64777cff,@object ; @__hip_cuid_f39671ab64777cff
	.section	.bss,"aw",@nobits
	.globl	__hip_cuid_f39671ab64777cff
__hip_cuid_f39671ab64777cff:
	.byte	0                               ; 0x0
	.size	__hip_cuid_f39671ab64777cff, 1

	.ident	"AMD clang version 19.0.0git (https://github.com/RadeonOpenCompute/llvm-project roc-6.4.0 25133 c7fe45cf4b819c5991fe208aaa96edf142730f1d)"
	.section	".note.GNU-stack","",@progbits
	.addrsig
	.addrsig_sym __hip_cuid_f39671ab64777cff
	.amdgpu_metadata
---
amdhsa.kernels:
  - .args:
      - .actual_access:  read_only
        .address_space:  global
        .offset:         0
        .size:           8
        .value_kind:     global_buffer
      - .offset:         8
        .size:           8
        .value_kind:     by_value
      - .actual_access:  read_only
        .address_space:  global
        .offset:         16
        .size:           8
        .value_kind:     global_buffer
      - .actual_access:  read_only
        .address_space:  global
        .offset:         24
        .size:           8
        .value_kind:     global_buffer
      - .actual_access:  read_only
        .address_space:  global
        .offset:         32
        .size:           8
        .value_kind:     global_buffer
      - .offset:         40
        .size:           8
        .value_kind:     by_value
      - .actual_access:  read_only
        .address_space:  global
        .offset:         48
        .size:           8
        .value_kind:     global_buffer
      - .actual_access:  read_only
        .address_space:  global
        .offset:         56
        .size:           8
        .value_kind:     global_buffer
      - .offset:         64
        .size:           4
        .value_kind:     by_value
      - .actual_access:  read_only
        .address_space:  global
        .offset:         72
        .size:           8
        .value_kind:     global_buffer
      - .actual_access:  read_only
        .address_space:  global
        .offset:         80
        .size:           8
        .value_kind:     global_buffer
      - .actual_access:  read_only
        .address_space:  global
        .offset:         88
        .size:           8
        .value_kind:     global_buffer
      - .actual_access:  write_only
        .address_space:  global
        .offset:         96
        .size:           8
        .value_kind:     global_buffer
    .group_segment_fixed_size: 0
    .kernarg_segment_align: 8
    .kernarg_segment_size: 104
    .language:       OpenCL C
    .language_version:
      - 2
      - 0
    .max_flat_workgroup_size: 90
    .name:           fft_rtc_fwd_len2700_factors_3_10_10_3_3_wgs_90_tpt_90_halfLds_half_op_CI_CI_unitstride_sbrr_C2R_dirReg
    .private_segment_fixed_size: 0
    .sgpr_count:     32
    .sgpr_spill_count: 0
    .symbol:         fft_rtc_fwd_len2700_factors_3_10_10_3_3_wgs_90_tpt_90_halfLds_half_op_CI_CI_unitstride_sbrr_C2R_dirReg.kd
    .uniform_work_group_size: 1
    .uses_dynamic_stack: false
    .vgpr_count:     113
    .vgpr_spill_count: 0
    .wavefront_size: 64
amdhsa.target:   amdgcn-amd-amdhsa--gfx906
amdhsa.version:
  - 1
  - 2
...

	.end_amdgpu_metadata
